;; amdgpu-corpus repo=ROCm/rocSPARSE kind=compiled arch=gfx1250 opt=O3
	.amdgcn_target "amdgcn-amd-amdhsa--gfx1250"
	.amdhsa_code_object_version 6
	.section	.text._ZN9rocsparseL16coo2dense_kernelILj512EiDF16_EEvT0_S1_ll21rocsparse_index_base_PKT1_PKS1_S7_PS3_16rocsparse_order_,"axG",@progbits,_ZN9rocsparseL16coo2dense_kernelILj512EiDF16_EEvT0_S1_ll21rocsparse_index_base_PKT1_PKS1_S7_PS3_16rocsparse_order_,comdat
	.globl	_ZN9rocsparseL16coo2dense_kernelILj512EiDF16_EEvT0_S1_ll21rocsparse_index_base_PKT1_PKS1_S7_PS3_16rocsparse_order_ ; -- Begin function _ZN9rocsparseL16coo2dense_kernelILj512EiDF16_EEvT0_S1_ll21rocsparse_index_base_PKT1_PKS1_S7_PS3_16rocsparse_order_
	.p2align	8
	.type	_ZN9rocsparseL16coo2dense_kernelILj512EiDF16_EEvT0_S1_ll21rocsparse_index_base_PKT1_PKS1_S7_PS3_16rocsparse_order_,@function
_ZN9rocsparseL16coo2dense_kernelILj512EiDF16_EEvT0_S1_ll21rocsparse_index_base_PKT1_PKS1_S7_PS3_16rocsparse_order_: ; @_ZN9rocsparseL16coo2dense_kernelILj512EiDF16_EEvT0_S1_ll21rocsparse_index_base_PKT1_PKS1_S7_PS3_16rocsparse_order_
; %bb.0:
	s_load_b128 s[4:7], s[0:1], 0x8
	s_bfe_u32 s2, ttmp6, 0x4000c
	s_and_b32 s3, ttmp6, 15
	s_add_co_i32 s2, s2, 1
	s_getreg_b32 s8, hwreg(HW_REG_IB_STS2, 6, 4)
	s_mul_i32 s2, ttmp9, s2
	v_mov_b32_e32 v1, 0
	s_add_co_i32 s3, s3, s2
	s_cmp_eq_u32 s8, 0
	s_cselect_b32 s2, ttmp9, s3
	s_delay_alu instid0(SALU_CYCLE_1) | instskip(SKIP_2) | instid1(VALU_DEP_1)
	v_lshl_or_b32 v0, s2, 9, v0
	s_mov_b32 s2, exec_lo
	s_wait_kmcnt 0x0
	v_cmpx_gt_i64_e64 s[4:5], v[0:1]
	s_cbranch_execz .LBB0_2
; %bb.1:
	s_load_b256 s[8:15], s[0:1], 0x20
	v_lshlrev_b64_e32 v[2:3], 2, v[0:1]
	s_wait_kmcnt 0x0
	s_delay_alu instid0(VALU_DEP_1)
	v_add_nc_u64_e32 v[4:5], s[10:11], v[2:3]
	v_add_nc_u64_e32 v[2:3], s[12:13], v[2:3]
	v_lshl_add_u64 v[0:1], v[0:1], 1, s[8:9]
	global_load_b32 v6, v[4:5], off
	global_load_b32 v7, v[2:3], off
	global_load_u16 v4, v[0:1], off
	s_clause 0x1
	s_load_b32 s2, s[0:1], 0x18
	s_load_b32 s3, s[0:1], 0x40
	s_wait_kmcnt 0x0
	s_cmp_eq_u32 s3, 1
	s_cselect_b32 vcc_lo, -1, 0
	s_wait_loadcnt 0x2
	v_subrev_nc_u32_e32 v2, s2, v6
	s_wait_loadcnt 0x1
	v_subrev_nc_u32_e32 v3, s2, v7
	s_delay_alu instid0(VALU_DEP_1) | instskip(NEXT) | instid1(VALU_DEP_1)
	v_dual_cndmask_b32 v0, v2, v3, vcc_lo :: v_dual_cndmask_b32 v2, v3, v2, vcc_lo
	v_dual_ashrrev_i32 v1, 31, v0 :: v_dual_ashrrev_i32 v3, 31, v2
	s_delay_alu instid0(VALU_DEP_1) | instskip(NEXT) | instid1(VALU_DEP_1)
	v_mul_u64_e32 v[0:1], s[6:7], v[0:1]
	v_lshl_add_u64 v[0:1], v[0:1], 1, s[14:15]
	s_delay_alu instid0(VALU_DEP_1)
	v_lshl_add_u64 v[0:1], v[2:3], 1, v[0:1]
	s_wait_loadcnt 0x0
	global_store_b16 v[0:1], v4, off
.LBB0_2:
	s_endpgm
	.section	.rodata,"a",@progbits
	.p2align	6, 0x0
	.amdhsa_kernel _ZN9rocsparseL16coo2dense_kernelILj512EiDF16_EEvT0_S1_ll21rocsparse_index_base_PKT1_PKS1_S7_PS3_16rocsparse_order_
		.amdhsa_group_segment_fixed_size 0
		.amdhsa_private_segment_fixed_size 0
		.amdhsa_kernarg_size 68
		.amdhsa_user_sgpr_count 2
		.amdhsa_user_sgpr_dispatch_ptr 0
		.amdhsa_user_sgpr_queue_ptr 0
		.amdhsa_user_sgpr_kernarg_segment_ptr 1
		.amdhsa_user_sgpr_dispatch_id 0
		.amdhsa_user_sgpr_kernarg_preload_length 0
		.amdhsa_user_sgpr_kernarg_preload_offset 0
		.amdhsa_user_sgpr_private_segment_size 0
		.amdhsa_wavefront_size32 1
		.amdhsa_uses_dynamic_stack 0
		.amdhsa_enable_private_segment 0
		.amdhsa_system_sgpr_workgroup_id_x 1
		.amdhsa_system_sgpr_workgroup_id_y 0
		.amdhsa_system_sgpr_workgroup_id_z 0
		.amdhsa_system_sgpr_workgroup_info 0
		.amdhsa_system_vgpr_workitem_id 0
		.amdhsa_next_free_vgpr 8
		.amdhsa_next_free_sgpr 16
		.amdhsa_named_barrier_count 0
		.amdhsa_reserve_vcc 1
		.amdhsa_float_round_mode_32 0
		.amdhsa_float_round_mode_16_64 0
		.amdhsa_float_denorm_mode_32 3
		.amdhsa_float_denorm_mode_16_64 3
		.amdhsa_fp16_overflow 0
		.amdhsa_memory_ordered 1
		.amdhsa_forward_progress 1
		.amdhsa_inst_pref_size 3
		.amdhsa_round_robin_scheduling 0
		.amdhsa_exception_fp_ieee_invalid_op 0
		.amdhsa_exception_fp_denorm_src 0
		.amdhsa_exception_fp_ieee_div_zero 0
		.amdhsa_exception_fp_ieee_overflow 0
		.amdhsa_exception_fp_ieee_underflow 0
		.amdhsa_exception_fp_ieee_inexact 0
		.amdhsa_exception_int_div_zero 0
	.end_amdhsa_kernel
	.section	.text._ZN9rocsparseL16coo2dense_kernelILj512EiDF16_EEvT0_S1_ll21rocsparse_index_base_PKT1_PKS1_S7_PS3_16rocsparse_order_,"axG",@progbits,_ZN9rocsparseL16coo2dense_kernelILj512EiDF16_EEvT0_S1_ll21rocsparse_index_base_PKT1_PKS1_S7_PS3_16rocsparse_order_,comdat
.Lfunc_end0:
	.size	_ZN9rocsparseL16coo2dense_kernelILj512EiDF16_EEvT0_S1_ll21rocsparse_index_base_PKT1_PKS1_S7_PS3_16rocsparse_order_, .Lfunc_end0-_ZN9rocsparseL16coo2dense_kernelILj512EiDF16_EEvT0_S1_ll21rocsparse_index_base_PKT1_PKS1_S7_PS3_16rocsparse_order_
                                        ; -- End function
	.set _ZN9rocsparseL16coo2dense_kernelILj512EiDF16_EEvT0_S1_ll21rocsparse_index_base_PKT1_PKS1_S7_PS3_16rocsparse_order_.num_vgpr, 8
	.set _ZN9rocsparseL16coo2dense_kernelILj512EiDF16_EEvT0_S1_ll21rocsparse_index_base_PKT1_PKS1_S7_PS3_16rocsparse_order_.num_agpr, 0
	.set _ZN9rocsparseL16coo2dense_kernelILj512EiDF16_EEvT0_S1_ll21rocsparse_index_base_PKT1_PKS1_S7_PS3_16rocsparse_order_.numbered_sgpr, 16
	.set _ZN9rocsparseL16coo2dense_kernelILj512EiDF16_EEvT0_S1_ll21rocsparse_index_base_PKT1_PKS1_S7_PS3_16rocsparse_order_.num_named_barrier, 0
	.set _ZN9rocsparseL16coo2dense_kernelILj512EiDF16_EEvT0_S1_ll21rocsparse_index_base_PKT1_PKS1_S7_PS3_16rocsparse_order_.private_seg_size, 0
	.set _ZN9rocsparseL16coo2dense_kernelILj512EiDF16_EEvT0_S1_ll21rocsparse_index_base_PKT1_PKS1_S7_PS3_16rocsparse_order_.uses_vcc, 1
	.set _ZN9rocsparseL16coo2dense_kernelILj512EiDF16_EEvT0_S1_ll21rocsparse_index_base_PKT1_PKS1_S7_PS3_16rocsparse_order_.uses_flat_scratch, 0
	.set _ZN9rocsparseL16coo2dense_kernelILj512EiDF16_EEvT0_S1_ll21rocsparse_index_base_PKT1_PKS1_S7_PS3_16rocsparse_order_.has_dyn_sized_stack, 0
	.set _ZN9rocsparseL16coo2dense_kernelILj512EiDF16_EEvT0_S1_ll21rocsparse_index_base_PKT1_PKS1_S7_PS3_16rocsparse_order_.has_recursion, 0
	.set _ZN9rocsparseL16coo2dense_kernelILj512EiDF16_EEvT0_S1_ll21rocsparse_index_base_PKT1_PKS1_S7_PS3_16rocsparse_order_.has_indirect_call, 0
	.section	.AMDGPU.csdata,"",@progbits
; Kernel info:
; codeLenInByte = 276
; TotalNumSgprs: 18
; NumVgprs: 8
; ScratchSize: 0
; MemoryBound: 0
; FloatMode: 240
; IeeeMode: 1
; LDSByteSize: 0 bytes/workgroup (compile time only)
; SGPRBlocks: 0
; VGPRBlocks: 0
; NumSGPRsForWavesPerEU: 18
; NumVGPRsForWavesPerEU: 8
; NamedBarCnt: 0
; Occupancy: 16
; WaveLimiterHint : 1
; COMPUTE_PGM_RSRC2:SCRATCH_EN: 0
; COMPUTE_PGM_RSRC2:USER_SGPR: 2
; COMPUTE_PGM_RSRC2:TRAP_HANDLER: 0
; COMPUTE_PGM_RSRC2:TGID_X_EN: 1
; COMPUTE_PGM_RSRC2:TGID_Y_EN: 0
; COMPUTE_PGM_RSRC2:TGID_Z_EN: 0
; COMPUTE_PGM_RSRC2:TIDIG_COMP_CNT: 0
	.section	.text._ZN9rocsparseL16coo2dense_kernelILj512Ei18rocsparse_bfloat16EEvT0_S2_ll21rocsparse_index_base_PKT1_PKS2_S8_PS4_16rocsparse_order_,"axG",@progbits,_ZN9rocsparseL16coo2dense_kernelILj512Ei18rocsparse_bfloat16EEvT0_S2_ll21rocsparse_index_base_PKT1_PKS2_S8_PS4_16rocsparse_order_,comdat
	.globl	_ZN9rocsparseL16coo2dense_kernelILj512Ei18rocsparse_bfloat16EEvT0_S2_ll21rocsparse_index_base_PKT1_PKS2_S8_PS4_16rocsparse_order_ ; -- Begin function _ZN9rocsparseL16coo2dense_kernelILj512Ei18rocsparse_bfloat16EEvT0_S2_ll21rocsparse_index_base_PKT1_PKS2_S8_PS4_16rocsparse_order_
	.p2align	8
	.type	_ZN9rocsparseL16coo2dense_kernelILj512Ei18rocsparse_bfloat16EEvT0_S2_ll21rocsparse_index_base_PKT1_PKS2_S8_PS4_16rocsparse_order_,@function
_ZN9rocsparseL16coo2dense_kernelILj512Ei18rocsparse_bfloat16EEvT0_S2_ll21rocsparse_index_base_PKT1_PKS2_S8_PS4_16rocsparse_order_: ; @_ZN9rocsparseL16coo2dense_kernelILj512Ei18rocsparse_bfloat16EEvT0_S2_ll21rocsparse_index_base_PKT1_PKS2_S8_PS4_16rocsparse_order_
; %bb.0:
	s_load_b128 s[4:7], s[0:1], 0x8
	s_bfe_u32 s2, ttmp6, 0x4000c
	s_and_b32 s3, ttmp6, 15
	s_add_co_i32 s2, s2, 1
	s_getreg_b32 s8, hwreg(HW_REG_IB_STS2, 6, 4)
	s_mul_i32 s2, ttmp9, s2
	v_mov_b32_e32 v1, 0
	s_add_co_i32 s3, s3, s2
	s_cmp_eq_u32 s8, 0
	s_cselect_b32 s2, ttmp9, s3
	s_delay_alu instid0(SALU_CYCLE_1) | instskip(SKIP_2) | instid1(VALU_DEP_1)
	v_lshl_or_b32 v0, s2, 9, v0
	s_mov_b32 s2, exec_lo
	s_wait_kmcnt 0x0
	v_cmpx_gt_i64_e64 s[4:5], v[0:1]
	s_cbranch_execz .LBB1_2
; %bb.1:
	s_load_b256 s[8:15], s[0:1], 0x20
	v_lshlrev_b64_e32 v[2:3], 2, v[0:1]
	s_wait_kmcnt 0x0
	s_delay_alu instid0(VALU_DEP_1)
	v_add_nc_u64_e32 v[4:5], s[10:11], v[2:3]
	v_add_nc_u64_e32 v[2:3], s[12:13], v[2:3]
	v_lshl_add_u64 v[0:1], v[0:1], 1, s[8:9]
	global_load_b32 v6, v[4:5], off
	global_load_b32 v7, v[2:3], off
	global_load_u16 v4, v[0:1], off
	s_clause 0x1
	s_load_b32 s2, s[0:1], 0x18
	s_load_b32 s3, s[0:1], 0x40
	s_wait_kmcnt 0x0
	s_cmp_eq_u32 s3, 1
	s_cselect_b32 vcc_lo, -1, 0
	s_wait_loadcnt 0x2
	v_subrev_nc_u32_e32 v2, s2, v6
	s_wait_loadcnt 0x1
	v_subrev_nc_u32_e32 v3, s2, v7
	s_delay_alu instid0(VALU_DEP_1) | instskip(NEXT) | instid1(VALU_DEP_1)
	v_dual_cndmask_b32 v0, v2, v3, vcc_lo :: v_dual_cndmask_b32 v2, v3, v2, vcc_lo
	v_dual_ashrrev_i32 v1, 31, v0 :: v_dual_ashrrev_i32 v3, 31, v2
	s_delay_alu instid0(VALU_DEP_1) | instskip(NEXT) | instid1(VALU_DEP_1)
	v_mul_u64_e32 v[0:1], s[6:7], v[0:1]
	v_lshl_add_u64 v[0:1], v[0:1], 1, s[14:15]
	s_delay_alu instid0(VALU_DEP_1)
	v_lshl_add_u64 v[0:1], v[2:3], 1, v[0:1]
	s_wait_loadcnt 0x0
	global_store_b16 v[0:1], v4, off
.LBB1_2:
	s_endpgm
	.section	.rodata,"a",@progbits
	.p2align	6, 0x0
	.amdhsa_kernel _ZN9rocsparseL16coo2dense_kernelILj512Ei18rocsparse_bfloat16EEvT0_S2_ll21rocsparse_index_base_PKT1_PKS2_S8_PS4_16rocsparse_order_
		.amdhsa_group_segment_fixed_size 0
		.amdhsa_private_segment_fixed_size 0
		.amdhsa_kernarg_size 68
		.amdhsa_user_sgpr_count 2
		.amdhsa_user_sgpr_dispatch_ptr 0
		.amdhsa_user_sgpr_queue_ptr 0
		.amdhsa_user_sgpr_kernarg_segment_ptr 1
		.amdhsa_user_sgpr_dispatch_id 0
		.amdhsa_user_sgpr_kernarg_preload_length 0
		.amdhsa_user_sgpr_kernarg_preload_offset 0
		.amdhsa_user_sgpr_private_segment_size 0
		.amdhsa_wavefront_size32 1
		.amdhsa_uses_dynamic_stack 0
		.amdhsa_enable_private_segment 0
		.amdhsa_system_sgpr_workgroup_id_x 1
		.amdhsa_system_sgpr_workgroup_id_y 0
		.amdhsa_system_sgpr_workgroup_id_z 0
		.amdhsa_system_sgpr_workgroup_info 0
		.amdhsa_system_vgpr_workitem_id 0
		.amdhsa_next_free_vgpr 8
		.amdhsa_next_free_sgpr 16
		.amdhsa_named_barrier_count 0
		.amdhsa_reserve_vcc 1
		.amdhsa_float_round_mode_32 0
		.amdhsa_float_round_mode_16_64 0
		.amdhsa_float_denorm_mode_32 3
		.amdhsa_float_denorm_mode_16_64 3
		.amdhsa_fp16_overflow 0
		.amdhsa_memory_ordered 1
		.amdhsa_forward_progress 1
		.amdhsa_inst_pref_size 3
		.amdhsa_round_robin_scheduling 0
		.amdhsa_exception_fp_ieee_invalid_op 0
		.amdhsa_exception_fp_denorm_src 0
		.amdhsa_exception_fp_ieee_div_zero 0
		.amdhsa_exception_fp_ieee_overflow 0
		.amdhsa_exception_fp_ieee_underflow 0
		.amdhsa_exception_fp_ieee_inexact 0
		.amdhsa_exception_int_div_zero 0
	.end_amdhsa_kernel
	.section	.text._ZN9rocsparseL16coo2dense_kernelILj512Ei18rocsparse_bfloat16EEvT0_S2_ll21rocsparse_index_base_PKT1_PKS2_S8_PS4_16rocsparse_order_,"axG",@progbits,_ZN9rocsparseL16coo2dense_kernelILj512Ei18rocsparse_bfloat16EEvT0_S2_ll21rocsparse_index_base_PKT1_PKS2_S8_PS4_16rocsparse_order_,comdat
.Lfunc_end1:
	.size	_ZN9rocsparseL16coo2dense_kernelILj512Ei18rocsparse_bfloat16EEvT0_S2_ll21rocsparse_index_base_PKT1_PKS2_S8_PS4_16rocsparse_order_, .Lfunc_end1-_ZN9rocsparseL16coo2dense_kernelILj512Ei18rocsparse_bfloat16EEvT0_S2_ll21rocsparse_index_base_PKT1_PKS2_S8_PS4_16rocsparse_order_
                                        ; -- End function
	.set _ZN9rocsparseL16coo2dense_kernelILj512Ei18rocsparse_bfloat16EEvT0_S2_ll21rocsparse_index_base_PKT1_PKS2_S8_PS4_16rocsparse_order_.num_vgpr, 8
	.set _ZN9rocsparseL16coo2dense_kernelILj512Ei18rocsparse_bfloat16EEvT0_S2_ll21rocsparse_index_base_PKT1_PKS2_S8_PS4_16rocsparse_order_.num_agpr, 0
	.set _ZN9rocsparseL16coo2dense_kernelILj512Ei18rocsparse_bfloat16EEvT0_S2_ll21rocsparse_index_base_PKT1_PKS2_S8_PS4_16rocsparse_order_.numbered_sgpr, 16
	.set _ZN9rocsparseL16coo2dense_kernelILj512Ei18rocsparse_bfloat16EEvT0_S2_ll21rocsparse_index_base_PKT1_PKS2_S8_PS4_16rocsparse_order_.num_named_barrier, 0
	.set _ZN9rocsparseL16coo2dense_kernelILj512Ei18rocsparse_bfloat16EEvT0_S2_ll21rocsparse_index_base_PKT1_PKS2_S8_PS4_16rocsparse_order_.private_seg_size, 0
	.set _ZN9rocsparseL16coo2dense_kernelILj512Ei18rocsparse_bfloat16EEvT0_S2_ll21rocsparse_index_base_PKT1_PKS2_S8_PS4_16rocsparse_order_.uses_vcc, 1
	.set _ZN9rocsparseL16coo2dense_kernelILj512Ei18rocsparse_bfloat16EEvT0_S2_ll21rocsparse_index_base_PKT1_PKS2_S8_PS4_16rocsparse_order_.uses_flat_scratch, 0
	.set _ZN9rocsparseL16coo2dense_kernelILj512Ei18rocsparse_bfloat16EEvT0_S2_ll21rocsparse_index_base_PKT1_PKS2_S8_PS4_16rocsparse_order_.has_dyn_sized_stack, 0
	.set _ZN9rocsparseL16coo2dense_kernelILj512Ei18rocsparse_bfloat16EEvT0_S2_ll21rocsparse_index_base_PKT1_PKS2_S8_PS4_16rocsparse_order_.has_recursion, 0
	.set _ZN9rocsparseL16coo2dense_kernelILj512Ei18rocsparse_bfloat16EEvT0_S2_ll21rocsparse_index_base_PKT1_PKS2_S8_PS4_16rocsparse_order_.has_indirect_call, 0
	.section	.AMDGPU.csdata,"",@progbits
; Kernel info:
; codeLenInByte = 276
; TotalNumSgprs: 18
; NumVgprs: 8
; ScratchSize: 0
; MemoryBound: 0
; FloatMode: 240
; IeeeMode: 1
; LDSByteSize: 0 bytes/workgroup (compile time only)
; SGPRBlocks: 0
; VGPRBlocks: 0
; NumSGPRsForWavesPerEU: 18
; NumVGPRsForWavesPerEU: 8
; NamedBarCnt: 0
; Occupancy: 16
; WaveLimiterHint : 1
; COMPUTE_PGM_RSRC2:SCRATCH_EN: 0
; COMPUTE_PGM_RSRC2:USER_SGPR: 2
; COMPUTE_PGM_RSRC2:TRAP_HANDLER: 0
; COMPUTE_PGM_RSRC2:TGID_X_EN: 1
; COMPUTE_PGM_RSRC2:TGID_Y_EN: 0
; COMPUTE_PGM_RSRC2:TGID_Z_EN: 0
; COMPUTE_PGM_RSRC2:TIDIG_COMP_CNT: 0
	.section	.text._ZN9rocsparseL16coo2dense_kernelILj512EifEEvT0_S1_ll21rocsparse_index_base_PKT1_PKS1_S7_PS3_16rocsparse_order_,"axG",@progbits,_ZN9rocsparseL16coo2dense_kernelILj512EifEEvT0_S1_ll21rocsparse_index_base_PKT1_PKS1_S7_PS3_16rocsparse_order_,comdat
	.globl	_ZN9rocsparseL16coo2dense_kernelILj512EifEEvT0_S1_ll21rocsparse_index_base_PKT1_PKS1_S7_PS3_16rocsparse_order_ ; -- Begin function _ZN9rocsparseL16coo2dense_kernelILj512EifEEvT0_S1_ll21rocsparse_index_base_PKT1_PKS1_S7_PS3_16rocsparse_order_
	.p2align	8
	.type	_ZN9rocsparseL16coo2dense_kernelILj512EifEEvT0_S1_ll21rocsparse_index_base_PKT1_PKS1_S7_PS3_16rocsparse_order_,@function
_ZN9rocsparseL16coo2dense_kernelILj512EifEEvT0_S1_ll21rocsparse_index_base_PKT1_PKS1_S7_PS3_16rocsparse_order_: ; @_ZN9rocsparseL16coo2dense_kernelILj512EifEEvT0_S1_ll21rocsparse_index_base_PKT1_PKS1_S7_PS3_16rocsparse_order_
; %bb.0:
	s_load_b128 s[4:7], s[0:1], 0x8
	s_bfe_u32 s2, ttmp6, 0x4000c
	s_and_b32 s3, ttmp6, 15
	s_add_co_i32 s2, s2, 1
	s_getreg_b32 s8, hwreg(HW_REG_IB_STS2, 6, 4)
	s_mul_i32 s2, ttmp9, s2
	v_mov_b32_e32 v1, 0
	s_add_co_i32 s3, s3, s2
	s_cmp_eq_u32 s8, 0
	s_cselect_b32 s2, ttmp9, s3
	s_delay_alu instid0(SALU_CYCLE_1) | instskip(SKIP_2) | instid1(VALU_DEP_1)
	v_lshl_or_b32 v0, s2, 9, v0
	s_mov_b32 s2, exec_lo
	s_wait_kmcnt 0x0
	v_cmpx_gt_i64_e64 s[4:5], v[0:1]
	s_cbranch_execz .LBB2_2
; %bb.1:
	s_load_b256 s[8:15], s[0:1], 0x20
	v_lshlrev_b64_e32 v[0:1], 2, v[0:1]
	s_wait_kmcnt 0x0
	s_delay_alu instid0(VALU_DEP_1)
	v_add_nc_u64_e32 v[2:3], s[10:11], v[0:1]
	v_add_nc_u64_e32 v[4:5], s[12:13], v[0:1]
	;; [unrolled: 1-line block ×3, first 2 shown]
	global_load_b32 v6, v[2:3], off
	global_load_b32 v7, v[4:5], off
	;; [unrolled: 1-line block ×3, first 2 shown]
	s_clause 0x1
	s_load_b32 s2, s[0:1], 0x18
	s_load_b32 s3, s[0:1], 0x40
	s_wait_kmcnt 0x0
	s_cmp_eq_u32 s3, 1
	s_cselect_b32 vcc_lo, -1, 0
	s_wait_loadcnt 0x2
	v_subrev_nc_u32_e32 v2, s2, v6
	s_wait_loadcnt 0x1
	v_subrev_nc_u32_e32 v3, s2, v7
	s_delay_alu instid0(VALU_DEP_1) | instskip(NEXT) | instid1(VALU_DEP_1)
	v_dual_cndmask_b32 v0, v2, v3, vcc_lo :: v_dual_cndmask_b32 v2, v3, v2, vcc_lo
	v_dual_ashrrev_i32 v1, 31, v0 :: v_dual_ashrrev_i32 v3, 31, v2
	s_delay_alu instid0(VALU_DEP_1) | instskip(NEXT) | instid1(VALU_DEP_1)
	v_mul_u64_e32 v[0:1], s[6:7], v[0:1]
	v_lshl_add_u64 v[0:1], v[0:1], 2, s[14:15]
	s_delay_alu instid0(VALU_DEP_1)
	v_lshl_add_u64 v[0:1], v[2:3], 2, v[0:1]
	s_wait_loadcnt 0x0
	global_store_b32 v[0:1], v4, off
.LBB2_2:
	s_endpgm
	.section	.rodata,"a",@progbits
	.p2align	6, 0x0
	.amdhsa_kernel _ZN9rocsparseL16coo2dense_kernelILj512EifEEvT0_S1_ll21rocsparse_index_base_PKT1_PKS1_S7_PS3_16rocsparse_order_
		.amdhsa_group_segment_fixed_size 0
		.amdhsa_private_segment_fixed_size 0
		.amdhsa_kernarg_size 68
		.amdhsa_user_sgpr_count 2
		.amdhsa_user_sgpr_dispatch_ptr 0
		.amdhsa_user_sgpr_queue_ptr 0
		.amdhsa_user_sgpr_kernarg_segment_ptr 1
		.amdhsa_user_sgpr_dispatch_id 0
		.amdhsa_user_sgpr_kernarg_preload_length 0
		.amdhsa_user_sgpr_kernarg_preload_offset 0
		.amdhsa_user_sgpr_private_segment_size 0
		.amdhsa_wavefront_size32 1
		.amdhsa_uses_dynamic_stack 0
		.amdhsa_enable_private_segment 0
		.amdhsa_system_sgpr_workgroup_id_x 1
		.amdhsa_system_sgpr_workgroup_id_y 0
		.amdhsa_system_sgpr_workgroup_id_z 0
		.amdhsa_system_sgpr_workgroup_info 0
		.amdhsa_system_vgpr_workitem_id 0
		.amdhsa_next_free_vgpr 8
		.amdhsa_next_free_sgpr 16
		.amdhsa_named_barrier_count 0
		.amdhsa_reserve_vcc 1
		.amdhsa_float_round_mode_32 0
		.amdhsa_float_round_mode_16_64 0
		.amdhsa_float_denorm_mode_32 3
		.amdhsa_float_denorm_mode_16_64 3
		.amdhsa_fp16_overflow 0
		.amdhsa_memory_ordered 1
		.amdhsa_forward_progress 1
		.amdhsa_inst_pref_size 3
		.amdhsa_round_robin_scheduling 0
		.amdhsa_exception_fp_ieee_invalid_op 0
		.amdhsa_exception_fp_denorm_src 0
		.amdhsa_exception_fp_ieee_div_zero 0
		.amdhsa_exception_fp_ieee_overflow 0
		.amdhsa_exception_fp_ieee_underflow 0
		.amdhsa_exception_fp_ieee_inexact 0
		.amdhsa_exception_int_div_zero 0
	.end_amdhsa_kernel
	.section	.text._ZN9rocsparseL16coo2dense_kernelILj512EifEEvT0_S1_ll21rocsparse_index_base_PKT1_PKS1_S7_PS3_16rocsparse_order_,"axG",@progbits,_ZN9rocsparseL16coo2dense_kernelILj512EifEEvT0_S1_ll21rocsparse_index_base_PKT1_PKS1_S7_PS3_16rocsparse_order_,comdat
.Lfunc_end2:
	.size	_ZN9rocsparseL16coo2dense_kernelILj512EifEEvT0_S1_ll21rocsparse_index_base_PKT1_PKS1_S7_PS3_16rocsparse_order_, .Lfunc_end2-_ZN9rocsparseL16coo2dense_kernelILj512EifEEvT0_S1_ll21rocsparse_index_base_PKT1_PKS1_S7_PS3_16rocsparse_order_
                                        ; -- End function
	.set _ZN9rocsparseL16coo2dense_kernelILj512EifEEvT0_S1_ll21rocsparse_index_base_PKT1_PKS1_S7_PS3_16rocsparse_order_.num_vgpr, 8
	.set _ZN9rocsparseL16coo2dense_kernelILj512EifEEvT0_S1_ll21rocsparse_index_base_PKT1_PKS1_S7_PS3_16rocsparse_order_.num_agpr, 0
	.set _ZN9rocsparseL16coo2dense_kernelILj512EifEEvT0_S1_ll21rocsparse_index_base_PKT1_PKS1_S7_PS3_16rocsparse_order_.numbered_sgpr, 16
	.set _ZN9rocsparseL16coo2dense_kernelILj512EifEEvT0_S1_ll21rocsparse_index_base_PKT1_PKS1_S7_PS3_16rocsparse_order_.num_named_barrier, 0
	.set _ZN9rocsparseL16coo2dense_kernelILj512EifEEvT0_S1_ll21rocsparse_index_base_PKT1_PKS1_S7_PS3_16rocsparse_order_.private_seg_size, 0
	.set _ZN9rocsparseL16coo2dense_kernelILj512EifEEvT0_S1_ll21rocsparse_index_base_PKT1_PKS1_S7_PS3_16rocsparse_order_.uses_vcc, 1
	.set _ZN9rocsparseL16coo2dense_kernelILj512EifEEvT0_S1_ll21rocsparse_index_base_PKT1_PKS1_S7_PS3_16rocsparse_order_.uses_flat_scratch, 0
	.set _ZN9rocsparseL16coo2dense_kernelILj512EifEEvT0_S1_ll21rocsparse_index_base_PKT1_PKS1_S7_PS3_16rocsparse_order_.has_dyn_sized_stack, 0
	.set _ZN9rocsparseL16coo2dense_kernelILj512EifEEvT0_S1_ll21rocsparse_index_base_PKT1_PKS1_S7_PS3_16rocsparse_order_.has_recursion, 0
	.set _ZN9rocsparseL16coo2dense_kernelILj512EifEEvT0_S1_ll21rocsparse_index_base_PKT1_PKS1_S7_PS3_16rocsparse_order_.has_indirect_call, 0
	.section	.AMDGPU.csdata,"",@progbits
; Kernel info:
; codeLenInByte = 272
; TotalNumSgprs: 18
; NumVgprs: 8
; ScratchSize: 0
; MemoryBound: 0
; FloatMode: 240
; IeeeMode: 1
; LDSByteSize: 0 bytes/workgroup (compile time only)
; SGPRBlocks: 0
; VGPRBlocks: 0
; NumSGPRsForWavesPerEU: 18
; NumVGPRsForWavesPerEU: 8
; NamedBarCnt: 0
; Occupancy: 16
; WaveLimiterHint : 1
; COMPUTE_PGM_RSRC2:SCRATCH_EN: 0
; COMPUTE_PGM_RSRC2:USER_SGPR: 2
; COMPUTE_PGM_RSRC2:TRAP_HANDLER: 0
; COMPUTE_PGM_RSRC2:TGID_X_EN: 1
; COMPUTE_PGM_RSRC2:TGID_Y_EN: 0
; COMPUTE_PGM_RSRC2:TGID_Z_EN: 0
; COMPUTE_PGM_RSRC2:TIDIG_COMP_CNT: 0
	.section	.text._ZN9rocsparseL16coo2dense_kernelILj512EidEEvT0_S1_ll21rocsparse_index_base_PKT1_PKS1_S7_PS3_16rocsparse_order_,"axG",@progbits,_ZN9rocsparseL16coo2dense_kernelILj512EidEEvT0_S1_ll21rocsparse_index_base_PKT1_PKS1_S7_PS3_16rocsparse_order_,comdat
	.globl	_ZN9rocsparseL16coo2dense_kernelILj512EidEEvT0_S1_ll21rocsparse_index_base_PKT1_PKS1_S7_PS3_16rocsparse_order_ ; -- Begin function _ZN9rocsparseL16coo2dense_kernelILj512EidEEvT0_S1_ll21rocsparse_index_base_PKT1_PKS1_S7_PS3_16rocsparse_order_
	.p2align	8
	.type	_ZN9rocsparseL16coo2dense_kernelILj512EidEEvT0_S1_ll21rocsparse_index_base_PKT1_PKS1_S7_PS3_16rocsparse_order_,@function
_ZN9rocsparseL16coo2dense_kernelILj512EidEEvT0_S1_ll21rocsparse_index_base_PKT1_PKS1_S7_PS3_16rocsparse_order_: ; @_ZN9rocsparseL16coo2dense_kernelILj512EidEEvT0_S1_ll21rocsparse_index_base_PKT1_PKS1_S7_PS3_16rocsparse_order_
; %bb.0:
	s_load_b128 s[4:7], s[0:1], 0x8
	s_bfe_u32 s2, ttmp6, 0x4000c
	s_and_b32 s3, ttmp6, 15
	s_add_co_i32 s2, s2, 1
	s_getreg_b32 s8, hwreg(HW_REG_IB_STS2, 6, 4)
	s_mul_i32 s2, ttmp9, s2
	v_mov_b32_e32 v1, 0
	s_add_co_i32 s3, s3, s2
	s_cmp_eq_u32 s8, 0
	s_cselect_b32 s2, ttmp9, s3
	s_delay_alu instid0(SALU_CYCLE_1) | instskip(SKIP_2) | instid1(VALU_DEP_1)
	v_lshl_or_b32 v0, s2, 9, v0
	s_mov_b32 s2, exec_lo
	s_wait_kmcnt 0x0
	v_cmpx_gt_i64_e64 s[4:5], v[0:1]
	s_cbranch_execz .LBB3_2
; %bb.1:
	s_load_b256 s[8:15], s[0:1], 0x20
	v_lshlrev_b64_e32 v[2:3], 2, v[0:1]
	s_wait_kmcnt 0x0
	s_delay_alu instid0(VALU_DEP_1)
	v_add_nc_u64_e32 v[4:5], s[10:11], v[2:3]
	v_add_nc_u64_e32 v[2:3], s[12:13], v[2:3]
	v_lshl_add_u64 v[0:1], v[0:1], 3, s[8:9]
	global_load_b32 v6, v[4:5], off
	global_load_b32 v7, v[2:3], off
	global_load_b64 v[0:1], v[0:1], off
	s_clause 0x1
	s_load_b32 s2, s[0:1], 0x18
	s_load_b32 s3, s[0:1], 0x40
	s_wait_kmcnt 0x0
	s_cmp_eq_u32 s3, 1
	s_cselect_b32 vcc_lo, -1, 0
	s_wait_loadcnt 0x2
	v_subrev_nc_u32_e32 v4, s2, v6
	s_wait_loadcnt 0x1
	v_subrev_nc_u32_e32 v5, s2, v7
	s_delay_alu instid0(VALU_DEP_1) | instskip(NEXT) | instid1(VALU_DEP_1)
	v_dual_cndmask_b32 v2, v4, v5, vcc_lo :: v_dual_cndmask_b32 v4, v5, v4, vcc_lo
	v_dual_ashrrev_i32 v3, 31, v2 :: v_dual_ashrrev_i32 v5, 31, v4
	s_delay_alu instid0(VALU_DEP_1) | instskip(NEXT) | instid1(VALU_DEP_1)
	v_mul_u64_e32 v[2:3], s[6:7], v[2:3]
	v_lshl_add_u64 v[2:3], v[2:3], 3, s[14:15]
	s_delay_alu instid0(VALU_DEP_1)
	v_lshl_add_u64 v[2:3], v[4:5], 3, v[2:3]
	s_wait_loadcnt 0x0
	global_store_b64 v[2:3], v[0:1], off
.LBB3_2:
	s_endpgm
	.section	.rodata,"a",@progbits
	.p2align	6, 0x0
	.amdhsa_kernel _ZN9rocsparseL16coo2dense_kernelILj512EidEEvT0_S1_ll21rocsparse_index_base_PKT1_PKS1_S7_PS3_16rocsparse_order_
		.amdhsa_group_segment_fixed_size 0
		.amdhsa_private_segment_fixed_size 0
		.amdhsa_kernarg_size 68
		.amdhsa_user_sgpr_count 2
		.amdhsa_user_sgpr_dispatch_ptr 0
		.amdhsa_user_sgpr_queue_ptr 0
		.amdhsa_user_sgpr_kernarg_segment_ptr 1
		.amdhsa_user_sgpr_dispatch_id 0
		.amdhsa_user_sgpr_kernarg_preload_length 0
		.amdhsa_user_sgpr_kernarg_preload_offset 0
		.amdhsa_user_sgpr_private_segment_size 0
		.amdhsa_wavefront_size32 1
		.amdhsa_uses_dynamic_stack 0
		.amdhsa_enable_private_segment 0
		.amdhsa_system_sgpr_workgroup_id_x 1
		.amdhsa_system_sgpr_workgroup_id_y 0
		.amdhsa_system_sgpr_workgroup_id_z 0
		.amdhsa_system_sgpr_workgroup_info 0
		.amdhsa_system_vgpr_workitem_id 0
		.amdhsa_next_free_vgpr 8
		.amdhsa_next_free_sgpr 16
		.amdhsa_named_barrier_count 0
		.amdhsa_reserve_vcc 1
		.amdhsa_float_round_mode_32 0
		.amdhsa_float_round_mode_16_64 0
		.amdhsa_float_denorm_mode_32 3
		.amdhsa_float_denorm_mode_16_64 3
		.amdhsa_fp16_overflow 0
		.amdhsa_memory_ordered 1
		.amdhsa_forward_progress 1
		.amdhsa_inst_pref_size 3
		.amdhsa_round_robin_scheduling 0
		.amdhsa_exception_fp_ieee_invalid_op 0
		.amdhsa_exception_fp_denorm_src 0
		.amdhsa_exception_fp_ieee_div_zero 0
		.amdhsa_exception_fp_ieee_overflow 0
		.amdhsa_exception_fp_ieee_underflow 0
		.amdhsa_exception_fp_ieee_inexact 0
		.amdhsa_exception_int_div_zero 0
	.end_amdhsa_kernel
	.section	.text._ZN9rocsparseL16coo2dense_kernelILj512EidEEvT0_S1_ll21rocsparse_index_base_PKT1_PKS1_S7_PS3_16rocsparse_order_,"axG",@progbits,_ZN9rocsparseL16coo2dense_kernelILj512EidEEvT0_S1_ll21rocsparse_index_base_PKT1_PKS1_S7_PS3_16rocsparse_order_,comdat
.Lfunc_end3:
	.size	_ZN9rocsparseL16coo2dense_kernelILj512EidEEvT0_S1_ll21rocsparse_index_base_PKT1_PKS1_S7_PS3_16rocsparse_order_, .Lfunc_end3-_ZN9rocsparseL16coo2dense_kernelILj512EidEEvT0_S1_ll21rocsparse_index_base_PKT1_PKS1_S7_PS3_16rocsparse_order_
                                        ; -- End function
	.set _ZN9rocsparseL16coo2dense_kernelILj512EidEEvT0_S1_ll21rocsparse_index_base_PKT1_PKS1_S7_PS3_16rocsparse_order_.num_vgpr, 8
	.set _ZN9rocsparseL16coo2dense_kernelILj512EidEEvT0_S1_ll21rocsparse_index_base_PKT1_PKS1_S7_PS3_16rocsparse_order_.num_agpr, 0
	.set _ZN9rocsparseL16coo2dense_kernelILj512EidEEvT0_S1_ll21rocsparse_index_base_PKT1_PKS1_S7_PS3_16rocsparse_order_.numbered_sgpr, 16
	.set _ZN9rocsparseL16coo2dense_kernelILj512EidEEvT0_S1_ll21rocsparse_index_base_PKT1_PKS1_S7_PS3_16rocsparse_order_.num_named_barrier, 0
	.set _ZN9rocsparseL16coo2dense_kernelILj512EidEEvT0_S1_ll21rocsparse_index_base_PKT1_PKS1_S7_PS3_16rocsparse_order_.private_seg_size, 0
	.set _ZN9rocsparseL16coo2dense_kernelILj512EidEEvT0_S1_ll21rocsparse_index_base_PKT1_PKS1_S7_PS3_16rocsparse_order_.uses_vcc, 1
	.set _ZN9rocsparseL16coo2dense_kernelILj512EidEEvT0_S1_ll21rocsparse_index_base_PKT1_PKS1_S7_PS3_16rocsparse_order_.uses_flat_scratch, 0
	.set _ZN9rocsparseL16coo2dense_kernelILj512EidEEvT0_S1_ll21rocsparse_index_base_PKT1_PKS1_S7_PS3_16rocsparse_order_.has_dyn_sized_stack, 0
	.set _ZN9rocsparseL16coo2dense_kernelILj512EidEEvT0_S1_ll21rocsparse_index_base_PKT1_PKS1_S7_PS3_16rocsparse_order_.has_recursion, 0
	.set _ZN9rocsparseL16coo2dense_kernelILj512EidEEvT0_S1_ll21rocsparse_index_base_PKT1_PKS1_S7_PS3_16rocsparse_order_.has_indirect_call, 0
	.section	.AMDGPU.csdata,"",@progbits
; Kernel info:
; codeLenInByte = 276
; TotalNumSgprs: 18
; NumVgprs: 8
; ScratchSize: 0
; MemoryBound: 0
; FloatMode: 240
; IeeeMode: 1
; LDSByteSize: 0 bytes/workgroup (compile time only)
; SGPRBlocks: 0
; VGPRBlocks: 0
; NumSGPRsForWavesPerEU: 18
; NumVGPRsForWavesPerEU: 8
; NamedBarCnt: 0
; Occupancy: 16
; WaveLimiterHint : 1
; COMPUTE_PGM_RSRC2:SCRATCH_EN: 0
; COMPUTE_PGM_RSRC2:USER_SGPR: 2
; COMPUTE_PGM_RSRC2:TRAP_HANDLER: 0
; COMPUTE_PGM_RSRC2:TGID_X_EN: 1
; COMPUTE_PGM_RSRC2:TGID_Y_EN: 0
; COMPUTE_PGM_RSRC2:TGID_Z_EN: 0
; COMPUTE_PGM_RSRC2:TIDIG_COMP_CNT: 0
	.section	.text._ZN9rocsparseL16coo2dense_kernelILj512Ei21rocsparse_complex_numIfEEEvT0_S3_ll21rocsparse_index_base_PKT1_PKS3_S9_PS5_16rocsparse_order_,"axG",@progbits,_ZN9rocsparseL16coo2dense_kernelILj512Ei21rocsparse_complex_numIfEEEvT0_S3_ll21rocsparse_index_base_PKT1_PKS3_S9_PS5_16rocsparse_order_,comdat
	.globl	_ZN9rocsparseL16coo2dense_kernelILj512Ei21rocsparse_complex_numIfEEEvT0_S3_ll21rocsparse_index_base_PKT1_PKS3_S9_PS5_16rocsparse_order_ ; -- Begin function _ZN9rocsparseL16coo2dense_kernelILj512Ei21rocsparse_complex_numIfEEEvT0_S3_ll21rocsparse_index_base_PKT1_PKS3_S9_PS5_16rocsparse_order_
	.p2align	8
	.type	_ZN9rocsparseL16coo2dense_kernelILj512Ei21rocsparse_complex_numIfEEEvT0_S3_ll21rocsparse_index_base_PKT1_PKS3_S9_PS5_16rocsparse_order_,@function
_ZN9rocsparseL16coo2dense_kernelILj512Ei21rocsparse_complex_numIfEEEvT0_S3_ll21rocsparse_index_base_PKT1_PKS3_S9_PS5_16rocsparse_order_: ; @_ZN9rocsparseL16coo2dense_kernelILj512Ei21rocsparse_complex_numIfEEEvT0_S3_ll21rocsparse_index_base_PKT1_PKS3_S9_PS5_16rocsparse_order_
; %bb.0:
	s_load_b128 s[4:7], s[0:1], 0x8
	s_bfe_u32 s2, ttmp6, 0x4000c
	s_and_b32 s3, ttmp6, 15
	s_add_co_i32 s2, s2, 1
	s_getreg_b32 s8, hwreg(HW_REG_IB_STS2, 6, 4)
	s_mul_i32 s2, ttmp9, s2
	v_mov_b32_e32 v1, 0
	s_add_co_i32 s3, s3, s2
	s_cmp_eq_u32 s8, 0
	s_cselect_b32 s2, ttmp9, s3
	s_delay_alu instid0(SALU_CYCLE_1) | instskip(SKIP_2) | instid1(VALU_DEP_1)
	v_lshl_or_b32 v0, s2, 9, v0
	s_mov_b32 s2, exec_lo
	s_wait_kmcnt 0x0
	v_cmpx_gt_i64_e64 s[4:5], v[0:1]
	s_cbranch_execz .LBB4_2
; %bb.1:
	s_load_b256 s[8:15], s[0:1], 0x20
	v_lshlrev_b64_e32 v[2:3], 2, v[0:1]
	s_wait_kmcnt 0x0
	s_delay_alu instid0(VALU_DEP_1)
	v_add_nc_u64_e32 v[4:5], s[10:11], v[2:3]
	v_add_nc_u64_e32 v[2:3], s[12:13], v[2:3]
	v_lshl_add_u64 v[0:1], v[0:1], 3, s[8:9]
	global_load_b32 v6, v[4:5], off
	global_load_b32 v7, v[2:3], off
	global_load_b64 v[0:1], v[0:1], off
	s_clause 0x1
	s_load_b32 s2, s[0:1], 0x18
	s_load_b32 s3, s[0:1], 0x40
	s_wait_kmcnt 0x0
	s_cmp_eq_u32 s3, 1
	s_cselect_b32 vcc_lo, -1, 0
	s_wait_loadcnt 0x2
	v_subrev_nc_u32_e32 v4, s2, v6
	s_wait_loadcnt 0x1
	v_subrev_nc_u32_e32 v5, s2, v7
	s_delay_alu instid0(VALU_DEP_1) | instskip(NEXT) | instid1(VALU_DEP_1)
	v_dual_cndmask_b32 v2, v4, v5, vcc_lo :: v_dual_cndmask_b32 v4, v5, v4, vcc_lo
	v_dual_ashrrev_i32 v3, 31, v2 :: v_dual_ashrrev_i32 v5, 31, v4
	s_delay_alu instid0(VALU_DEP_1) | instskip(NEXT) | instid1(VALU_DEP_1)
	v_mul_u64_e32 v[2:3], s[6:7], v[2:3]
	v_lshl_add_u64 v[2:3], v[2:3], 3, s[14:15]
	s_delay_alu instid0(VALU_DEP_1)
	v_lshl_add_u64 v[2:3], v[4:5], 3, v[2:3]
	s_wait_loadcnt 0x0
	global_store_b64 v[2:3], v[0:1], off
.LBB4_2:
	s_endpgm
	.section	.rodata,"a",@progbits
	.p2align	6, 0x0
	.amdhsa_kernel _ZN9rocsparseL16coo2dense_kernelILj512Ei21rocsparse_complex_numIfEEEvT0_S3_ll21rocsparse_index_base_PKT1_PKS3_S9_PS5_16rocsparse_order_
		.amdhsa_group_segment_fixed_size 0
		.amdhsa_private_segment_fixed_size 0
		.amdhsa_kernarg_size 68
		.amdhsa_user_sgpr_count 2
		.amdhsa_user_sgpr_dispatch_ptr 0
		.amdhsa_user_sgpr_queue_ptr 0
		.amdhsa_user_sgpr_kernarg_segment_ptr 1
		.amdhsa_user_sgpr_dispatch_id 0
		.amdhsa_user_sgpr_kernarg_preload_length 0
		.amdhsa_user_sgpr_kernarg_preload_offset 0
		.amdhsa_user_sgpr_private_segment_size 0
		.amdhsa_wavefront_size32 1
		.amdhsa_uses_dynamic_stack 0
		.amdhsa_enable_private_segment 0
		.amdhsa_system_sgpr_workgroup_id_x 1
		.amdhsa_system_sgpr_workgroup_id_y 0
		.amdhsa_system_sgpr_workgroup_id_z 0
		.amdhsa_system_sgpr_workgroup_info 0
		.amdhsa_system_vgpr_workitem_id 0
		.amdhsa_next_free_vgpr 8
		.amdhsa_next_free_sgpr 16
		.amdhsa_named_barrier_count 0
		.amdhsa_reserve_vcc 1
		.amdhsa_float_round_mode_32 0
		.amdhsa_float_round_mode_16_64 0
		.amdhsa_float_denorm_mode_32 3
		.amdhsa_float_denorm_mode_16_64 3
		.amdhsa_fp16_overflow 0
		.amdhsa_memory_ordered 1
		.amdhsa_forward_progress 1
		.amdhsa_inst_pref_size 3
		.amdhsa_round_robin_scheduling 0
		.amdhsa_exception_fp_ieee_invalid_op 0
		.amdhsa_exception_fp_denorm_src 0
		.amdhsa_exception_fp_ieee_div_zero 0
		.amdhsa_exception_fp_ieee_overflow 0
		.amdhsa_exception_fp_ieee_underflow 0
		.amdhsa_exception_fp_ieee_inexact 0
		.amdhsa_exception_int_div_zero 0
	.end_amdhsa_kernel
	.section	.text._ZN9rocsparseL16coo2dense_kernelILj512Ei21rocsparse_complex_numIfEEEvT0_S3_ll21rocsparse_index_base_PKT1_PKS3_S9_PS5_16rocsparse_order_,"axG",@progbits,_ZN9rocsparseL16coo2dense_kernelILj512Ei21rocsparse_complex_numIfEEEvT0_S3_ll21rocsparse_index_base_PKT1_PKS3_S9_PS5_16rocsparse_order_,comdat
.Lfunc_end4:
	.size	_ZN9rocsparseL16coo2dense_kernelILj512Ei21rocsparse_complex_numIfEEEvT0_S3_ll21rocsparse_index_base_PKT1_PKS3_S9_PS5_16rocsparse_order_, .Lfunc_end4-_ZN9rocsparseL16coo2dense_kernelILj512Ei21rocsparse_complex_numIfEEEvT0_S3_ll21rocsparse_index_base_PKT1_PKS3_S9_PS5_16rocsparse_order_
                                        ; -- End function
	.set _ZN9rocsparseL16coo2dense_kernelILj512Ei21rocsparse_complex_numIfEEEvT0_S3_ll21rocsparse_index_base_PKT1_PKS3_S9_PS5_16rocsparse_order_.num_vgpr, 8
	.set _ZN9rocsparseL16coo2dense_kernelILj512Ei21rocsparse_complex_numIfEEEvT0_S3_ll21rocsparse_index_base_PKT1_PKS3_S9_PS5_16rocsparse_order_.num_agpr, 0
	.set _ZN9rocsparseL16coo2dense_kernelILj512Ei21rocsparse_complex_numIfEEEvT0_S3_ll21rocsparse_index_base_PKT1_PKS3_S9_PS5_16rocsparse_order_.numbered_sgpr, 16
	.set _ZN9rocsparseL16coo2dense_kernelILj512Ei21rocsparse_complex_numIfEEEvT0_S3_ll21rocsparse_index_base_PKT1_PKS3_S9_PS5_16rocsparse_order_.num_named_barrier, 0
	.set _ZN9rocsparseL16coo2dense_kernelILj512Ei21rocsparse_complex_numIfEEEvT0_S3_ll21rocsparse_index_base_PKT1_PKS3_S9_PS5_16rocsparse_order_.private_seg_size, 0
	.set _ZN9rocsparseL16coo2dense_kernelILj512Ei21rocsparse_complex_numIfEEEvT0_S3_ll21rocsparse_index_base_PKT1_PKS3_S9_PS5_16rocsparse_order_.uses_vcc, 1
	.set _ZN9rocsparseL16coo2dense_kernelILj512Ei21rocsparse_complex_numIfEEEvT0_S3_ll21rocsparse_index_base_PKT1_PKS3_S9_PS5_16rocsparse_order_.uses_flat_scratch, 0
	.set _ZN9rocsparseL16coo2dense_kernelILj512Ei21rocsparse_complex_numIfEEEvT0_S3_ll21rocsparse_index_base_PKT1_PKS3_S9_PS5_16rocsparse_order_.has_dyn_sized_stack, 0
	.set _ZN9rocsparseL16coo2dense_kernelILj512Ei21rocsparse_complex_numIfEEEvT0_S3_ll21rocsparse_index_base_PKT1_PKS3_S9_PS5_16rocsparse_order_.has_recursion, 0
	.set _ZN9rocsparseL16coo2dense_kernelILj512Ei21rocsparse_complex_numIfEEEvT0_S3_ll21rocsparse_index_base_PKT1_PKS3_S9_PS5_16rocsparse_order_.has_indirect_call, 0
	.section	.AMDGPU.csdata,"",@progbits
; Kernel info:
; codeLenInByte = 276
; TotalNumSgprs: 18
; NumVgprs: 8
; ScratchSize: 0
; MemoryBound: 0
; FloatMode: 240
; IeeeMode: 1
; LDSByteSize: 0 bytes/workgroup (compile time only)
; SGPRBlocks: 0
; VGPRBlocks: 0
; NumSGPRsForWavesPerEU: 18
; NumVGPRsForWavesPerEU: 8
; NamedBarCnt: 0
; Occupancy: 16
; WaveLimiterHint : 1
; COMPUTE_PGM_RSRC2:SCRATCH_EN: 0
; COMPUTE_PGM_RSRC2:USER_SGPR: 2
; COMPUTE_PGM_RSRC2:TRAP_HANDLER: 0
; COMPUTE_PGM_RSRC2:TGID_X_EN: 1
; COMPUTE_PGM_RSRC2:TGID_Y_EN: 0
; COMPUTE_PGM_RSRC2:TGID_Z_EN: 0
; COMPUTE_PGM_RSRC2:TIDIG_COMP_CNT: 0
	.section	.text._ZN9rocsparseL16coo2dense_kernelILj512Ei21rocsparse_complex_numIdEEEvT0_S3_ll21rocsparse_index_base_PKT1_PKS3_S9_PS5_16rocsparse_order_,"axG",@progbits,_ZN9rocsparseL16coo2dense_kernelILj512Ei21rocsparse_complex_numIdEEEvT0_S3_ll21rocsparse_index_base_PKT1_PKS3_S9_PS5_16rocsparse_order_,comdat
	.globl	_ZN9rocsparseL16coo2dense_kernelILj512Ei21rocsparse_complex_numIdEEEvT0_S3_ll21rocsparse_index_base_PKT1_PKS3_S9_PS5_16rocsparse_order_ ; -- Begin function _ZN9rocsparseL16coo2dense_kernelILj512Ei21rocsparse_complex_numIdEEEvT0_S3_ll21rocsparse_index_base_PKT1_PKS3_S9_PS5_16rocsparse_order_
	.p2align	8
	.type	_ZN9rocsparseL16coo2dense_kernelILj512Ei21rocsparse_complex_numIdEEEvT0_S3_ll21rocsparse_index_base_PKT1_PKS3_S9_PS5_16rocsparse_order_,@function
_ZN9rocsparseL16coo2dense_kernelILj512Ei21rocsparse_complex_numIdEEEvT0_S3_ll21rocsparse_index_base_PKT1_PKS3_S9_PS5_16rocsparse_order_: ; @_ZN9rocsparseL16coo2dense_kernelILj512Ei21rocsparse_complex_numIdEEEvT0_S3_ll21rocsparse_index_base_PKT1_PKS3_S9_PS5_16rocsparse_order_
; %bb.0:
	s_load_b128 s[12:15], s[0:1], 0x8
	s_bfe_u32 s2, ttmp6, 0x4000c
	s_and_b32 s3, ttmp6, 15
	s_add_co_i32 s2, s2, 1
	s_getreg_b32 s4, hwreg(HW_REG_IB_STS2, 6, 4)
	s_mul_i32 s2, ttmp9, s2
	v_mov_b32_e32 v1, 0
	s_add_co_i32 s3, s3, s2
	s_cmp_eq_u32 s4, 0
	s_cselect_b32 s2, ttmp9, s3
	s_delay_alu instid0(SALU_CYCLE_1) | instskip(SKIP_2) | instid1(VALU_DEP_1)
	v_lshl_or_b32 v0, s2, 9, v0
	s_mov_b32 s2, exec_lo
	s_wait_kmcnt 0x0
	v_cmpx_gt_i64_e64 s[12:13], v[0:1]
	s_cbranch_execz .LBB5_2
; %bb.1:
	s_load_b256 s[4:11], s[0:1], 0x20
	v_lshlrev_b64_e32 v[2:3], 2, v[0:1]
	s_wait_kmcnt 0x0
	s_delay_alu instid0(VALU_DEP_1)
	v_add_nc_u64_e32 v[4:5], s[6:7], v[2:3]
	v_add_nc_u64_e32 v[2:3], s[8:9], v[2:3]
	v_lshl_add_u64 v[0:1], v[0:1], 4, s[4:5]
	global_load_b32 v6, v[4:5], off
	global_load_b32 v7, v[2:3], off
	global_load_b128 v[0:3], v[0:1], off
	s_clause 0x1
	s_load_b32 s2, s[0:1], 0x18
	s_load_b32 s3, s[0:1], 0x40
	s_wait_kmcnt 0x0
	s_cmp_eq_u32 s3, 1
	s_cselect_b32 vcc_lo, -1, 0
	s_wait_loadcnt 0x2
	v_subrev_nc_u32_e32 v6, s2, v6
	s_wait_loadcnt 0x1
	v_subrev_nc_u32_e32 v7, s2, v7
	s_delay_alu instid0(VALU_DEP_1) | instskip(NEXT) | instid1(VALU_DEP_1)
	v_dual_cndmask_b32 v4, v6, v7, vcc_lo :: v_dual_cndmask_b32 v6, v7, v6, vcc_lo
	v_dual_ashrrev_i32 v5, 31, v4 :: v_dual_ashrrev_i32 v7, 31, v6
	s_delay_alu instid0(VALU_DEP_1) | instskip(NEXT) | instid1(VALU_DEP_1)
	v_mul_u64_e32 v[4:5], s[14:15], v[4:5]
	v_lshl_add_u64 v[4:5], v[4:5], 4, s[10:11]
	s_delay_alu instid0(VALU_DEP_1)
	v_lshl_add_u64 v[4:5], v[6:7], 4, v[4:5]
	s_wait_loadcnt 0x0
	global_store_b128 v[4:5], v[0:3], off
.LBB5_2:
	s_endpgm
	.section	.rodata,"a",@progbits
	.p2align	6, 0x0
	.amdhsa_kernel _ZN9rocsparseL16coo2dense_kernelILj512Ei21rocsparse_complex_numIdEEEvT0_S3_ll21rocsparse_index_base_PKT1_PKS3_S9_PS5_16rocsparse_order_
		.amdhsa_group_segment_fixed_size 0
		.amdhsa_private_segment_fixed_size 0
		.amdhsa_kernarg_size 68
		.amdhsa_user_sgpr_count 2
		.amdhsa_user_sgpr_dispatch_ptr 0
		.amdhsa_user_sgpr_queue_ptr 0
		.amdhsa_user_sgpr_kernarg_segment_ptr 1
		.amdhsa_user_sgpr_dispatch_id 0
		.amdhsa_user_sgpr_kernarg_preload_length 0
		.amdhsa_user_sgpr_kernarg_preload_offset 0
		.amdhsa_user_sgpr_private_segment_size 0
		.amdhsa_wavefront_size32 1
		.amdhsa_uses_dynamic_stack 0
		.amdhsa_enable_private_segment 0
		.amdhsa_system_sgpr_workgroup_id_x 1
		.amdhsa_system_sgpr_workgroup_id_y 0
		.amdhsa_system_sgpr_workgroup_id_z 0
		.amdhsa_system_sgpr_workgroup_info 0
		.amdhsa_system_vgpr_workitem_id 0
		.amdhsa_next_free_vgpr 8
		.amdhsa_next_free_sgpr 16
		.amdhsa_named_barrier_count 0
		.amdhsa_reserve_vcc 1
		.amdhsa_float_round_mode_32 0
		.amdhsa_float_round_mode_16_64 0
		.amdhsa_float_denorm_mode_32 3
		.amdhsa_float_denorm_mode_16_64 3
		.amdhsa_fp16_overflow 0
		.amdhsa_memory_ordered 1
		.amdhsa_forward_progress 1
		.amdhsa_inst_pref_size 3
		.amdhsa_round_robin_scheduling 0
		.amdhsa_exception_fp_ieee_invalid_op 0
		.amdhsa_exception_fp_denorm_src 0
		.amdhsa_exception_fp_ieee_div_zero 0
		.amdhsa_exception_fp_ieee_overflow 0
		.amdhsa_exception_fp_ieee_underflow 0
		.amdhsa_exception_fp_ieee_inexact 0
		.amdhsa_exception_int_div_zero 0
	.end_amdhsa_kernel
	.section	.text._ZN9rocsparseL16coo2dense_kernelILj512Ei21rocsparse_complex_numIdEEEvT0_S3_ll21rocsparse_index_base_PKT1_PKS3_S9_PS5_16rocsparse_order_,"axG",@progbits,_ZN9rocsparseL16coo2dense_kernelILj512Ei21rocsparse_complex_numIdEEEvT0_S3_ll21rocsparse_index_base_PKT1_PKS3_S9_PS5_16rocsparse_order_,comdat
.Lfunc_end5:
	.size	_ZN9rocsparseL16coo2dense_kernelILj512Ei21rocsparse_complex_numIdEEEvT0_S3_ll21rocsparse_index_base_PKT1_PKS3_S9_PS5_16rocsparse_order_, .Lfunc_end5-_ZN9rocsparseL16coo2dense_kernelILj512Ei21rocsparse_complex_numIdEEEvT0_S3_ll21rocsparse_index_base_PKT1_PKS3_S9_PS5_16rocsparse_order_
                                        ; -- End function
	.set _ZN9rocsparseL16coo2dense_kernelILj512Ei21rocsparse_complex_numIdEEEvT0_S3_ll21rocsparse_index_base_PKT1_PKS3_S9_PS5_16rocsparse_order_.num_vgpr, 8
	.set _ZN9rocsparseL16coo2dense_kernelILj512Ei21rocsparse_complex_numIdEEEvT0_S3_ll21rocsparse_index_base_PKT1_PKS3_S9_PS5_16rocsparse_order_.num_agpr, 0
	.set _ZN9rocsparseL16coo2dense_kernelILj512Ei21rocsparse_complex_numIdEEEvT0_S3_ll21rocsparse_index_base_PKT1_PKS3_S9_PS5_16rocsparse_order_.numbered_sgpr, 16
	.set _ZN9rocsparseL16coo2dense_kernelILj512Ei21rocsparse_complex_numIdEEEvT0_S3_ll21rocsparse_index_base_PKT1_PKS3_S9_PS5_16rocsparse_order_.num_named_barrier, 0
	.set _ZN9rocsparseL16coo2dense_kernelILj512Ei21rocsparse_complex_numIdEEEvT0_S3_ll21rocsparse_index_base_PKT1_PKS3_S9_PS5_16rocsparse_order_.private_seg_size, 0
	.set _ZN9rocsparseL16coo2dense_kernelILj512Ei21rocsparse_complex_numIdEEEvT0_S3_ll21rocsparse_index_base_PKT1_PKS3_S9_PS5_16rocsparse_order_.uses_vcc, 1
	.set _ZN9rocsparseL16coo2dense_kernelILj512Ei21rocsparse_complex_numIdEEEvT0_S3_ll21rocsparse_index_base_PKT1_PKS3_S9_PS5_16rocsparse_order_.uses_flat_scratch, 0
	.set _ZN9rocsparseL16coo2dense_kernelILj512Ei21rocsparse_complex_numIdEEEvT0_S3_ll21rocsparse_index_base_PKT1_PKS3_S9_PS5_16rocsparse_order_.has_dyn_sized_stack, 0
	.set _ZN9rocsparseL16coo2dense_kernelILj512Ei21rocsparse_complex_numIdEEEvT0_S3_ll21rocsparse_index_base_PKT1_PKS3_S9_PS5_16rocsparse_order_.has_recursion, 0
	.set _ZN9rocsparseL16coo2dense_kernelILj512Ei21rocsparse_complex_numIdEEEvT0_S3_ll21rocsparse_index_base_PKT1_PKS3_S9_PS5_16rocsparse_order_.has_indirect_call, 0
	.section	.AMDGPU.csdata,"",@progbits
; Kernel info:
; codeLenInByte = 276
; TotalNumSgprs: 18
; NumVgprs: 8
; ScratchSize: 0
; MemoryBound: 0
; FloatMode: 240
; IeeeMode: 1
; LDSByteSize: 0 bytes/workgroup (compile time only)
; SGPRBlocks: 0
; VGPRBlocks: 0
; NumSGPRsForWavesPerEU: 18
; NumVGPRsForWavesPerEU: 8
; NamedBarCnt: 0
; Occupancy: 16
; WaveLimiterHint : 1
; COMPUTE_PGM_RSRC2:SCRATCH_EN: 0
; COMPUTE_PGM_RSRC2:USER_SGPR: 2
; COMPUTE_PGM_RSRC2:TRAP_HANDLER: 0
; COMPUTE_PGM_RSRC2:TGID_X_EN: 1
; COMPUTE_PGM_RSRC2:TGID_Y_EN: 0
; COMPUTE_PGM_RSRC2:TGID_Z_EN: 0
; COMPUTE_PGM_RSRC2:TIDIG_COMP_CNT: 0
	.section	.text._ZN9rocsparseL16coo2dense_kernelILj512ElDF16_EEvT0_S1_ll21rocsparse_index_base_PKT1_PKS1_S7_PS3_16rocsparse_order_,"axG",@progbits,_ZN9rocsparseL16coo2dense_kernelILj512ElDF16_EEvT0_S1_ll21rocsparse_index_base_PKT1_PKS1_S7_PS3_16rocsparse_order_,comdat
	.globl	_ZN9rocsparseL16coo2dense_kernelILj512ElDF16_EEvT0_S1_ll21rocsparse_index_base_PKT1_PKS1_S7_PS3_16rocsparse_order_ ; -- Begin function _ZN9rocsparseL16coo2dense_kernelILj512ElDF16_EEvT0_S1_ll21rocsparse_index_base_PKT1_PKS1_S7_PS3_16rocsparse_order_
	.p2align	8
	.type	_ZN9rocsparseL16coo2dense_kernelILj512ElDF16_EEvT0_S1_ll21rocsparse_index_base_PKT1_PKS1_S7_PS3_16rocsparse_order_,@function
_ZN9rocsparseL16coo2dense_kernelILj512ElDF16_EEvT0_S1_ll21rocsparse_index_base_PKT1_PKS1_S7_PS3_16rocsparse_order_: ; @_ZN9rocsparseL16coo2dense_kernelILj512ElDF16_EEvT0_S1_ll21rocsparse_index_base_PKT1_PKS1_S7_PS3_16rocsparse_order_
; %bb.0:
	s_load_b128 s[4:7], s[0:1], 0x10
	s_bfe_u32 s2, ttmp6, 0x4000c
	s_and_b32 s3, ttmp6, 15
	s_add_co_i32 s2, s2, 1
	s_getreg_b32 s8, hwreg(HW_REG_IB_STS2, 6, 4)
	s_mul_i32 s2, ttmp9, s2
	v_mov_b32_e32 v1, 0
	s_add_co_i32 s3, s3, s2
	s_cmp_eq_u32 s8, 0
	s_cselect_b32 s2, ttmp9, s3
	s_mov_b32 s3, 0
	v_lshl_or_b32 v0, s2, 9, v0
	s_mov_b32 s2, exec_lo
	s_wait_kmcnt 0x0
	s_delay_alu instid0(VALU_DEP_1)
	v_cmpx_gt_i64_e64 s[4:5], v[0:1]
	s_cbranch_execz .LBB6_2
; %bb.1:
	s_load_b256 s[8:15], s[0:1], 0x28
	v_lshlrev_b64_e32 v[2:3], 3, v[0:1]
	s_wait_kmcnt 0x0
	s_delay_alu instid0(VALU_DEP_1)
	v_add_nc_u64_e32 v[4:5], s[10:11], v[2:3]
	v_add_nc_u64_e32 v[2:3], s[12:13], v[2:3]
	v_lshl_add_u64 v[0:1], v[0:1], 1, s[8:9]
	global_load_b64 v[6:7], v[4:5], off
	global_load_b64 v[8:9], v[2:3], off
	global_load_u16 v10, v[0:1], off
	s_clause 0x1
	s_load_b32 s2, s[0:1], 0x20
	s_load_b32 s4, s[0:1], 0x48
	s_wait_kmcnt 0x0
	s_cmp_eq_u32 s4, 1
	s_cselect_b32 vcc_lo, -1, 0
	s_wait_loadcnt 0x2
	v_sub_nc_u64_e64 v[0:1], v[6:7], s[2:3]
	s_wait_loadcnt 0x1
	v_sub_nc_u64_e64 v[2:3], v[8:9], s[2:3]
	s_delay_alu instid0(VALU_DEP_1) | instskip(SKIP_1) | instid1(VALU_DEP_2)
	v_dual_cndmask_b32 v5, v1, v3 :: v_dual_cndmask_b32 v4, v0, v2
	v_dual_cndmask_b32 v1, v3, v1 :: v_dual_cndmask_b32 v0, v2, v0
	v_mul_u64_e32 v[4:5], s[6:7], v[4:5]
	s_delay_alu instid0(VALU_DEP_1) | instskip(NEXT) | instid1(VALU_DEP_1)
	v_lshl_add_u64 v[2:3], v[4:5], 1, s[14:15]
	v_lshl_add_u64 v[0:1], v[0:1], 1, v[2:3]
	s_wait_loadcnt 0x0
	global_store_b16 v[0:1], v10, off
.LBB6_2:
	s_endpgm
	.section	.rodata,"a",@progbits
	.p2align	6, 0x0
	.amdhsa_kernel _ZN9rocsparseL16coo2dense_kernelILj512ElDF16_EEvT0_S1_ll21rocsparse_index_base_PKT1_PKS1_S7_PS3_16rocsparse_order_
		.amdhsa_group_segment_fixed_size 0
		.amdhsa_private_segment_fixed_size 0
		.amdhsa_kernarg_size 76
		.amdhsa_user_sgpr_count 2
		.amdhsa_user_sgpr_dispatch_ptr 0
		.amdhsa_user_sgpr_queue_ptr 0
		.amdhsa_user_sgpr_kernarg_segment_ptr 1
		.amdhsa_user_sgpr_dispatch_id 0
		.amdhsa_user_sgpr_kernarg_preload_length 0
		.amdhsa_user_sgpr_kernarg_preload_offset 0
		.amdhsa_user_sgpr_private_segment_size 0
		.amdhsa_wavefront_size32 1
		.amdhsa_uses_dynamic_stack 0
		.amdhsa_enable_private_segment 0
		.amdhsa_system_sgpr_workgroup_id_x 1
		.amdhsa_system_sgpr_workgroup_id_y 0
		.amdhsa_system_sgpr_workgroup_id_z 0
		.amdhsa_system_sgpr_workgroup_info 0
		.amdhsa_system_vgpr_workitem_id 0
		.amdhsa_next_free_vgpr 11
		.amdhsa_next_free_sgpr 16
		.amdhsa_named_barrier_count 0
		.amdhsa_reserve_vcc 1
		.amdhsa_float_round_mode_32 0
		.amdhsa_float_round_mode_16_64 0
		.amdhsa_float_denorm_mode_32 3
		.amdhsa_float_denorm_mode_16_64 3
		.amdhsa_fp16_overflow 0
		.amdhsa_memory_ordered 1
		.amdhsa_forward_progress 1
		.amdhsa_inst_pref_size 3
		.amdhsa_round_robin_scheduling 0
		.amdhsa_exception_fp_ieee_invalid_op 0
		.amdhsa_exception_fp_denorm_src 0
		.amdhsa_exception_fp_ieee_div_zero 0
		.amdhsa_exception_fp_ieee_overflow 0
		.amdhsa_exception_fp_ieee_underflow 0
		.amdhsa_exception_fp_ieee_inexact 0
		.amdhsa_exception_int_div_zero 0
	.end_amdhsa_kernel
	.section	.text._ZN9rocsparseL16coo2dense_kernelILj512ElDF16_EEvT0_S1_ll21rocsparse_index_base_PKT1_PKS1_S7_PS3_16rocsparse_order_,"axG",@progbits,_ZN9rocsparseL16coo2dense_kernelILj512ElDF16_EEvT0_S1_ll21rocsparse_index_base_PKT1_PKS1_S7_PS3_16rocsparse_order_,comdat
.Lfunc_end6:
	.size	_ZN9rocsparseL16coo2dense_kernelILj512ElDF16_EEvT0_S1_ll21rocsparse_index_base_PKT1_PKS1_S7_PS3_16rocsparse_order_, .Lfunc_end6-_ZN9rocsparseL16coo2dense_kernelILj512ElDF16_EEvT0_S1_ll21rocsparse_index_base_PKT1_PKS1_S7_PS3_16rocsparse_order_
                                        ; -- End function
	.set _ZN9rocsparseL16coo2dense_kernelILj512ElDF16_EEvT0_S1_ll21rocsparse_index_base_PKT1_PKS1_S7_PS3_16rocsparse_order_.num_vgpr, 11
	.set _ZN9rocsparseL16coo2dense_kernelILj512ElDF16_EEvT0_S1_ll21rocsparse_index_base_PKT1_PKS1_S7_PS3_16rocsparse_order_.num_agpr, 0
	.set _ZN9rocsparseL16coo2dense_kernelILj512ElDF16_EEvT0_S1_ll21rocsparse_index_base_PKT1_PKS1_S7_PS3_16rocsparse_order_.numbered_sgpr, 16
	.set _ZN9rocsparseL16coo2dense_kernelILj512ElDF16_EEvT0_S1_ll21rocsparse_index_base_PKT1_PKS1_S7_PS3_16rocsparse_order_.num_named_barrier, 0
	.set _ZN9rocsparseL16coo2dense_kernelILj512ElDF16_EEvT0_S1_ll21rocsparse_index_base_PKT1_PKS1_S7_PS3_16rocsparse_order_.private_seg_size, 0
	.set _ZN9rocsparseL16coo2dense_kernelILj512ElDF16_EEvT0_S1_ll21rocsparse_index_base_PKT1_PKS1_S7_PS3_16rocsparse_order_.uses_vcc, 1
	.set _ZN9rocsparseL16coo2dense_kernelILj512ElDF16_EEvT0_S1_ll21rocsparse_index_base_PKT1_PKS1_S7_PS3_16rocsparse_order_.uses_flat_scratch, 0
	.set _ZN9rocsparseL16coo2dense_kernelILj512ElDF16_EEvT0_S1_ll21rocsparse_index_base_PKT1_PKS1_S7_PS3_16rocsparse_order_.has_dyn_sized_stack, 0
	.set _ZN9rocsparseL16coo2dense_kernelILj512ElDF16_EEvT0_S1_ll21rocsparse_index_base_PKT1_PKS1_S7_PS3_16rocsparse_order_.has_recursion, 0
	.set _ZN9rocsparseL16coo2dense_kernelILj512ElDF16_EEvT0_S1_ll21rocsparse_index_base_PKT1_PKS1_S7_PS3_16rocsparse_order_.has_indirect_call, 0
	.section	.AMDGPU.csdata,"",@progbits
; Kernel info:
; codeLenInByte = 276
; TotalNumSgprs: 18
; NumVgprs: 11
; ScratchSize: 0
; MemoryBound: 0
; FloatMode: 240
; IeeeMode: 1
; LDSByteSize: 0 bytes/workgroup (compile time only)
; SGPRBlocks: 0
; VGPRBlocks: 0
; NumSGPRsForWavesPerEU: 18
; NumVGPRsForWavesPerEU: 11
; NamedBarCnt: 0
; Occupancy: 16
; WaveLimiterHint : 1
; COMPUTE_PGM_RSRC2:SCRATCH_EN: 0
; COMPUTE_PGM_RSRC2:USER_SGPR: 2
; COMPUTE_PGM_RSRC2:TRAP_HANDLER: 0
; COMPUTE_PGM_RSRC2:TGID_X_EN: 1
; COMPUTE_PGM_RSRC2:TGID_Y_EN: 0
; COMPUTE_PGM_RSRC2:TGID_Z_EN: 0
; COMPUTE_PGM_RSRC2:TIDIG_COMP_CNT: 0
	.section	.text._ZN9rocsparseL16coo2dense_kernelILj512El18rocsparse_bfloat16EEvT0_S2_ll21rocsparse_index_base_PKT1_PKS2_S8_PS4_16rocsparse_order_,"axG",@progbits,_ZN9rocsparseL16coo2dense_kernelILj512El18rocsparse_bfloat16EEvT0_S2_ll21rocsparse_index_base_PKT1_PKS2_S8_PS4_16rocsparse_order_,comdat
	.globl	_ZN9rocsparseL16coo2dense_kernelILj512El18rocsparse_bfloat16EEvT0_S2_ll21rocsparse_index_base_PKT1_PKS2_S8_PS4_16rocsparse_order_ ; -- Begin function _ZN9rocsparseL16coo2dense_kernelILj512El18rocsparse_bfloat16EEvT0_S2_ll21rocsparse_index_base_PKT1_PKS2_S8_PS4_16rocsparse_order_
	.p2align	8
	.type	_ZN9rocsparseL16coo2dense_kernelILj512El18rocsparse_bfloat16EEvT0_S2_ll21rocsparse_index_base_PKT1_PKS2_S8_PS4_16rocsparse_order_,@function
_ZN9rocsparseL16coo2dense_kernelILj512El18rocsparse_bfloat16EEvT0_S2_ll21rocsparse_index_base_PKT1_PKS2_S8_PS4_16rocsparse_order_: ; @_ZN9rocsparseL16coo2dense_kernelILj512El18rocsparse_bfloat16EEvT0_S2_ll21rocsparse_index_base_PKT1_PKS2_S8_PS4_16rocsparse_order_
; %bb.0:
	s_load_b128 s[4:7], s[0:1], 0x10
	s_bfe_u32 s2, ttmp6, 0x4000c
	s_and_b32 s3, ttmp6, 15
	s_add_co_i32 s2, s2, 1
	s_getreg_b32 s8, hwreg(HW_REG_IB_STS2, 6, 4)
	s_mul_i32 s2, ttmp9, s2
	v_mov_b32_e32 v1, 0
	s_add_co_i32 s3, s3, s2
	s_cmp_eq_u32 s8, 0
	s_cselect_b32 s2, ttmp9, s3
	s_mov_b32 s3, 0
	v_lshl_or_b32 v0, s2, 9, v0
	s_mov_b32 s2, exec_lo
	s_wait_kmcnt 0x0
	s_delay_alu instid0(VALU_DEP_1)
	v_cmpx_gt_i64_e64 s[4:5], v[0:1]
	s_cbranch_execz .LBB7_2
; %bb.1:
	s_load_b256 s[8:15], s[0:1], 0x28
	v_lshlrev_b64_e32 v[2:3], 3, v[0:1]
	s_wait_kmcnt 0x0
	s_delay_alu instid0(VALU_DEP_1)
	v_add_nc_u64_e32 v[4:5], s[10:11], v[2:3]
	v_add_nc_u64_e32 v[2:3], s[12:13], v[2:3]
	v_lshl_add_u64 v[0:1], v[0:1], 1, s[8:9]
	global_load_b64 v[6:7], v[4:5], off
	global_load_b64 v[8:9], v[2:3], off
	global_load_u16 v10, v[0:1], off
	s_clause 0x1
	s_load_b32 s2, s[0:1], 0x20
	s_load_b32 s4, s[0:1], 0x48
	s_wait_kmcnt 0x0
	s_cmp_eq_u32 s4, 1
	s_cselect_b32 vcc_lo, -1, 0
	s_wait_loadcnt 0x2
	v_sub_nc_u64_e64 v[0:1], v[6:7], s[2:3]
	s_wait_loadcnt 0x1
	v_sub_nc_u64_e64 v[2:3], v[8:9], s[2:3]
	s_delay_alu instid0(VALU_DEP_1) | instskip(SKIP_1) | instid1(VALU_DEP_2)
	v_dual_cndmask_b32 v5, v1, v3 :: v_dual_cndmask_b32 v4, v0, v2
	v_dual_cndmask_b32 v1, v3, v1 :: v_dual_cndmask_b32 v0, v2, v0
	v_mul_u64_e32 v[4:5], s[6:7], v[4:5]
	s_delay_alu instid0(VALU_DEP_1) | instskip(NEXT) | instid1(VALU_DEP_1)
	v_lshl_add_u64 v[2:3], v[4:5], 1, s[14:15]
	v_lshl_add_u64 v[0:1], v[0:1], 1, v[2:3]
	s_wait_loadcnt 0x0
	global_store_b16 v[0:1], v10, off
.LBB7_2:
	s_endpgm
	.section	.rodata,"a",@progbits
	.p2align	6, 0x0
	.amdhsa_kernel _ZN9rocsparseL16coo2dense_kernelILj512El18rocsparse_bfloat16EEvT0_S2_ll21rocsparse_index_base_PKT1_PKS2_S8_PS4_16rocsparse_order_
		.amdhsa_group_segment_fixed_size 0
		.amdhsa_private_segment_fixed_size 0
		.amdhsa_kernarg_size 76
		.amdhsa_user_sgpr_count 2
		.amdhsa_user_sgpr_dispatch_ptr 0
		.amdhsa_user_sgpr_queue_ptr 0
		.amdhsa_user_sgpr_kernarg_segment_ptr 1
		.amdhsa_user_sgpr_dispatch_id 0
		.amdhsa_user_sgpr_kernarg_preload_length 0
		.amdhsa_user_sgpr_kernarg_preload_offset 0
		.amdhsa_user_sgpr_private_segment_size 0
		.amdhsa_wavefront_size32 1
		.amdhsa_uses_dynamic_stack 0
		.amdhsa_enable_private_segment 0
		.amdhsa_system_sgpr_workgroup_id_x 1
		.amdhsa_system_sgpr_workgroup_id_y 0
		.amdhsa_system_sgpr_workgroup_id_z 0
		.amdhsa_system_sgpr_workgroup_info 0
		.amdhsa_system_vgpr_workitem_id 0
		.amdhsa_next_free_vgpr 11
		.amdhsa_next_free_sgpr 16
		.amdhsa_named_barrier_count 0
		.amdhsa_reserve_vcc 1
		.amdhsa_float_round_mode_32 0
		.amdhsa_float_round_mode_16_64 0
		.amdhsa_float_denorm_mode_32 3
		.amdhsa_float_denorm_mode_16_64 3
		.amdhsa_fp16_overflow 0
		.amdhsa_memory_ordered 1
		.amdhsa_forward_progress 1
		.amdhsa_inst_pref_size 3
		.amdhsa_round_robin_scheduling 0
		.amdhsa_exception_fp_ieee_invalid_op 0
		.amdhsa_exception_fp_denorm_src 0
		.amdhsa_exception_fp_ieee_div_zero 0
		.amdhsa_exception_fp_ieee_overflow 0
		.amdhsa_exception_fp_ieee_underflow 0
		.amdhsa_exception_fp_ieee_inexact 0
		.amdhsa_exception_int_div_zero 0
	.end_amdhsa_kernel
	.section	.text._ZN9rocsparseL16coo2dense_kernelILj512El18rocsparse_bfloat16EEvT0_S2_ll21rocsparse_index_base_PKT1_PKS2_S8_PS4_16rocsparse_order_,"axG",@progbits,_ZN9rocsparseL16coo2dense_kernelILj512El18rocsparse_bfloat16EEvT0_S2_ll21rocsparse_index_base_PKT1_PKS2_S8_PS4_16rocsparse_order_,comdat
.Lfunc_end7:
	.size	_ZN9rocsparseL16coo2dense_kernelILj512El18rocsparse_bfloat16EEvT0_S2_ll21rocsparse_index_base_PKT1_PKS2_S8_PS4_16rocsparse_order_, .Lfunc_end7-_ZN9rocsparseL16coo2dense_kernelILj512El18rocsparse_bfloat16EEvT0_S2_ll21rocsparse_index_base_PKT1_PKS2_S8_PS4_16rocsparse_order_
                                        ; -- End function
	.set _ZN9rocsparseL16coo2dense_kernelILj512El18rocsparse_bfloat16EEvT0_S2_ll21rocsparse_index_base_PKT1_PKS2_S8_PS4_16rocsparse_order_.num_vgpr, 11
	.set _ZN9rocsparseL16coo2dense_kernelILj512El18rocsparse_bfloat16EEvT0_S2_ll21rocsparse_index_base_PKT1_PKS2_S8_PS4_16rocsparse_order_.num_agpr, 0
	.set _ZN9rocsparseL16coo2dense_kernelILj512El18rocsparse_bfloat16EEvT0_S2_ll21rocsparse_index_base_PKT1_PKS2_S8_PS4_16rocsparse_order_.numbered_sgpr, 16
	.set _ZN9rocsparseL16coo2dense_kernelILj512El18rocsparse_bfloat16EEvT0_S2_ll21rocsparse_index_base_PKT1_PKS2_S8_PS4_16rocsparse_order_.num_named_barrier, 0
	.set _ZN9rocsparseL16coo2dense_kernelILj512El18rocsparse_bfloat16EEvT0_S2_ll21rocsparse_index_base_PKT1_PKS2_S8_PS4_16rocsparse_order_.private_seg_size, 0
	.set _ZN9rocsparseL16coo2dense_kernelILj512El18rocsparse_bfloat16EEvT0_S2_ll21rocsparse_index_base_PKT1_PKS2_S8_PS4_16rocsparse_order_.uses_vcc, 1
	.set _ZN9rocsparseL16coo2dense_kernelILj512El18rocsparse_bfloat16EEvT0_S2_ll21rocsparse_index_base_PKT1_PKS2_S8_PS4_16rocsparse_order_.uses_flat_scratch, 0
	.set _ZN9rocsparseL16coo2dense_kernelILj512El18rocsparse_bfloat16EEvT0_S2_ll21rocsparse_index_base_PKT1_PKS2_S8_PS4_16rocsparse_order_.has_dyn_sized_stack, 0
	.set _ZN9rocsparseL16coo2dense_kernelILj512El18rocsparse_bfloat16EEvT0_S2_ll21rocsparse_index_base_PKT1_PKS2_S8_PS4_16rocsparse_order_.has_recursion, 0
	.set _ZN9rocsparseL16coo2dense_kernelILj512El18rocsparse_bfloat16EEvT0_S2_ll21rocsparse_index_base_PKT1_PKS2_S8_PS4_16rocsparse_order_.has_indirect_call, 0
	.section	.AMDGPU.csdata,"",@progbits
; Kernel info:
; codeLenInByte = 276
; TotalNumSgprs: 18
; NumVgprs: 11
; ScratchSize: 0
; MemoryBound: 0
; FloatMode: 240
; IeeeMode: 1
; LDSByteSize: 0 bytes/workgroup (compile time only)
; SGPRBlocks: 0
; VGPRBlocks: 0
; NumSGPRsForWavesPerEU: 18
; NumVGPRsForWavesPerEU: 11
; NamedBarCnt: 0
; Occupancy: 16
; WaveLimiterHint : 1
; COMPUTE_PGM_RSRC2:SCRATCH_EN: 0
; COMPUTE_PGM_RSRC2:USER_SGPR: 2
; COMPUTE_PGM_RSRC2:TRAP_HANDLER: 0
; COMPUTE_PGM_RSRC2:TGID_X_EN: 1
; COMPUTE_PGM_RSRC2:TGID_Y_EN: 0
; COMPUTE_PGM_RSRC2:TGID_Z_EN: 0
; COMPUTE_PGM_RSRC2:TIDIG_COMP_CNT: 0
	.section	.text._ZN9rocsparseL16coo2dense_kernelILj512ElfEEvT0_S1_ll21rocsparse_index_base_PKT1_PKS1_S7_PS3_16rocsparse_order_,"axG",@progbits,_ZN9rocsparseL16coo2dense_kernelILj512ElfEEvT0_S1_ll21rocsparse_index_base_PKT1_PKS1_S7_PS3_16rocsparse_order_,comdat
	.globl	_ZN9rocsparseL16coo2dense_kernelILj512ElfEEvT0_S1_ll21rocsparse_index_base_PKT1_PKS1_S7_PS3_16rocsparse_order_ ; -- Begin function _ZN9rocsparseL16coo2dense_kernelILj512ElfEEvT0_S1_ll21rocsparse_index_base_PKT1_PKS1_S7_PS3_16rocsparse_order_
	.p2align	8
	.type	_ZN9rocsparseL16coo2dense_kernelILj512ElfEEvT0_S1_ll21rocsparse_index_base_PKT1_PKS1_S7_PS3_16rocsparse_order_,@function
_ZN9rocsparseL16coo2dense_kernelILj512ElfEEvT0_S1_ll21rocsparse_index_base_PKT1_PKS1_S7_PS3_16rocsparse_order_: ; @_ZN9rocsparseL16coo2dense_kernelILj512ElfEEvT0_S1_ll21rocsparse_index_base_PKT1_PKS1_S7_PS3_16rocsparse_order_
; %bb.0:
	s_load_b128 s[4:7], s[0:1], 0x10
	s_bfe_u32 s2, ttmp6, 0x4000c
	s_and_b32 s3, ttmp6, 15
	s_add_co_i32 s2, s2, 1
	s_getreg_b32 s8, hwreg(HW_REG_IB_STS2, 6, 4)
	s_mul_i32 s2, ttmp9, s2
	v_mov_b32_e32 v1, 0
	s_add_co_i32 s3, s3, s2
	s_cmp_eq_u32 s8, 0
	s_cselect_b32 s2, ttmp9, s3
	s_mov_b32 s3, 0
	v_lshl_or_b32 v0, s2, 9, v0
	s_mov_b32 s2, exec_lo
	s_wait_kmcnt 0x0
	s_delay_alu instid0(VALU_DEP_1)
	v_cmpx_gt_i64_e64 s[4:5], v[0:1]
	s_cbranch_execz .LBB8_2
; %bb.1:
	s_load_b256 s[8:15], s[0:1], 0x28
	v_lshlrev_b64_e32 v[2:3], 3, v[0:1]
	s_wait_kmcnt 0x0
	s_delay_alu instid0(VALU_DEP_1)
	v_add_nc_u64_e32 v[4:5], s[10:11], v[2:3]
	v_add_nc_u64_e32 v[2:3], s[12:13], v[2:3]
	v_lshl_add_u64 v[0:1], v[0:1], 2, s[8:9]
	global_load_b64 v[6:7], v[4:5], off
	global_load_b64 v[8:9], v[2:3], off
	global_load_b32 v10, v[0:1], off
	s_clause 0x1
	s_load_b32 s2, s[0:1], 0x20
	s_load_b32 s4, s[0:1], 0x48
	s_wait_kmcnt 0x0
	s_cmp_eq_u32 s4, 1
	s_cselect_b32 vcc_lo, -1, 0
	s_wait_loadcnt 0x2
	v_sub_nc_u64_e64 v[0:1], v[6:7], s[2:3]
	s_wait_loadcnt 0x1
	v_sub_nc_u64_e64 v[2:3], v[8:9], s[2:3]
	s_delay_alu instid0(VALU_DEP_1) | instskip(SKIP_1) | instid1(VALU_DEP_2)
	v_dual_cndmask_b32 v5, v1, v3 :: v_dual_cndmask_b32 v4, v0, v2
	v_dual_cndmask_b32 v1, v3, v1 :: v_dual_cndmask_b32 v0, v2, v0
	v_mul_u64_e32 v[4:5], s[6:7], v[4:5]
	s_delay_alu instid0(VALU_DEP_1) | instskip(NEXT) | instid1(VALU_DEP_1)
	v_lshl_add_u64 v[2:3], v[4:5], 2, s[14:15]
	v_lshl_add_u64 v[0:1], v[0:1], 2, v[2:3]
	s_wait_loadcnt 0x0
	global_store_b32 v[0:1], v10, off
.LBB8_2:
	s_endpgm
	.section	.rodata,"a",@progbits
	.p2align	6, 0x0
	.amdhsa_kernel _ZN9rocsparseL16coo2dense_kernelILj512ElfEEvT0_S1_ll21rocsparse_index_base_PKT1_PKS1_S7_PS3_16rocsparse_order_
		.amdhsa_group_segment_fixed_size 0
		.amdhsa_private_segment_fixed_size 0
		.amdhsa_kernarg_size 76
		.amdhsa_user_sgpr_count 2
		.amdhsa_user_sgpr_dispatch_ptr 0
		.amdhsa_user_sgpr_queue_ptr 0
		.amdhsa_user_sgpr_kernarg_segment_ptr 1
		.amdhsa_user_sgpr_dispatch_id 0
		.amdhsa_user_sgpr_kernarg_preload_length 0
		.amdhsa_user_sgpr_kernarg_preload_offset 0
		.amdhsa_user_sgpr_private_segment_size 0
		.amdhsa_wavefront_size32 1
		.amdhsa_uses_dynamic_stack 0
		.amdhsa_enable_private_segment 0
		.amdhsa_system_sgpr_workgroup_id_x 1
		.amdhsa_system_sgpr_workgroup_id_y 0
		.amdhsa_system_sgpr_workgroup_id_z 0
		.amdhsa_system_sgpr_workgroup_info 0
		.amdhsa_system_vgpr_workitem_id 0
		.amdhsa_next_free_vgpr 11
		.amdhsa_next_free_sgpr 16
		.amdhsa_named_barrier_count 0
		.amdhsa_reserve_vcc 1
		.amdhsa_float_round_mode_32 0
		.amdhsa_float_round_mode_16_64 0
		.amdhsa_float_denorm_mode_32 3
		.amdhsa_float_denorm_mode_16_64 3
		.amdhsa_fp16_overflow 0
		.amdhsa_memory_ordered 1
		.amdhsa_forward_progress 1
		.amdhsa_inst_pref_size 3
		.amdhsa_round_robin_scheduling 0
		.amdhsa_exception_fp_ieee_invalid_op 0
		.amdhsa_exception_fp_denorm_src 0
		.amdhsa_exception_fp_ieee_div_zero 0
		.amdhsa_exception_fp_ieee_overflow 0
		.amdhsa_exception_fp_ieee_underflow 0
		.amdhsa_exception_fp_ieee_inexact 0
		.amdhsa_exception_int_div_zero 0
	.end_amdhsa_kernel
	.section	.text._ZN9rocsparseL16coo2dense_kernelILj512ElfEEvT0_S1_ll21rocsparse_index_base_PKT1_PKS1_S7_PS3_16rocsparse_order_,"axG",@progbits,_ZN9rocsparseL16coo2dense_kernelILj512ElfEEvT0_S1_ll21rocsparse_index_base_PKT1_PKS1_S7_PS3_16rocsparse_order_,comdat
.Lfunc_end8:
	.size	_ZN9rocsparseL16coo2dense_kernelILj512ElfEEvT0_S1_ll21rocsparse_index_base_PKT1_PKS1_S7_PS3_16rocsparse_order_, .Lfunc_end8-_ZN9rocsparseL16coo2dense_kernelILj512ElfEEvT0_S1_ll21rocsparse_index_base_PKT1_PKS1_S7_PS3_16rocsparse_order_
                                        ; -- End function
	.set _ZN9rocsparseL16coo2dense_kernelILj512ElfEEvT0_S1_ll21rocsparse_index_base_PKT1_PKS1_S7_PS3_16rocsparse_order_.num_vgpr, 11
	.set _ZN9rocsparseL16coo2dense_kernelILj512ElfEEvT0_S1_ll21rocsparse_index_base_PKT1_PKS1_S7_PS3_16rocsparse_order_.num_agpr, 0
	.set _ZN9rocsparseL16coo2dense_kernelILj512ElfEEvT0_S1_ll21rocsparse_index_base_PKT1_PKS1_S7_PS3_16rocsparse_order_.numbered_sgpr, 16
	.set _ZN9rocsparseL16coo2dense_kernelILj512ElfEEvT0_S1_ll21rocsparse_index_base_PKT1_PKS1_S7_PS3_16rocsparse_order_.num_named_barrier, 0
	.set _ZN9rocsparseL16coo2dense_kernelILj512ElfEEvT0_S1_ll21rocsparse_index_base_PKT1_PKS1_S7_PS3_16rocsparse_order_.private_seg_size, 0
	.set _ZN9rocsparseL16coo2dense_kernelILj512ElfEEvT0_S1_ll21rocsparse_index_base_PKT1_PKS1_S7_PS3_16rocsparse_order_.uses_vcc, 1
	.set _ZN9rocsparseL16coo2dense_kernelILj512ElfEEvT0_S1_ll21rocsparse_index_base_PKT1_PKS1_S7_PS3_16rocsparse_order_.uses_flat_scratch, 0
	.set _ZN9rocsparseL16coo2dense_kernelILj512ElfEEvT0_S1_ll21rocsparse_index_base_PKT1_PKS1_S7_PS3_16rocsparse_order_.has_dyn_sized_stack, 0
	.set _ZN9rocsparseL16coo2dense_kernelILj512ElfEEvT0_S1_ll21rocsparse_index_base_PKT1_PKS1_S7_PS3_16rocsparse_order_.has_recursion, 0
	.set _ZN9rocsparseL16coo2dense_kernelILj512ElfEEvT0_S1_ll21rocsparse_index_base_PKT1_PKS1_S7_PS3_16rocsparse_order_.has_indirect_call, 0
	.section	.AMDGPU.csdata,"",@progbits
; Kernel info:
; codeLenInByte = 276
; TotalNumSgprs: 18
; NumVgprs: 11
; ScratchSize: 0
; MemoryBound: 0
; FloatMode: 240
; IeeeMode: 1
; LDSByteSize: 0 bytes/workgroup (compile time only)
; SGPRBlocks: 0
; VGPRBlocks: 0
; NumSGPRsForWavesPerEU: 18
; NumVGPRsForWavesPerEU: 11
; NamedBarCnt: 0
; Occupancy: 16
; WaveLimiterHint : 1
; COMPUTE_PGM_RSRC2:SCRATCH_EN: 0
; COMPUTE_PGM_RSRC2:USER_SGPR: 2
; COMPUTE_PGM_RSRC2:TRAP_HANDLER: 0
; COMPUTE_PGM_RSRC2:TGID_X_EN: 1
; COMPUTE_PGM_RSRC2:TGID_Y_EN: 0
; COMPUTE_PGM_RSRC2:TGID_Z_EN: 0
; COMPUTE_PGM_RSRC2:TIDIG_COMP_CNT: 0
	.section	.text._ZN9rocsparseL16coo2dense_kernelILj512EldEEvT0_S1_ll21rocsparse_index_base_PKT1_PKS1_S7_PS3_16rocsparse_order_,"axG",@progbits,_ZN9rocsparseL16coo2dense_kernelILj512EldEEvT0_S1_ll21rocsparse_index_base_PKT1_PKS1_S7_PS3_16rocsparse_order_,comdat
	.globl	_ZN9rocsparseL16coo2dense_kernelILj512EldEEvT0_S1_ll21rocsparse_index_base_PKT1_PKS1_S7_PS3_16rocsparse_order_ ; -- Begin function _ZN9rocsparseL16coo2dense_kernelILj512EldEEvT0_S1_ll21rocsparse_index_base_PKT1_PKS1_S7_PS3_16rocsparse_order_
	.p2align	8
	.type	_ZN9rocsparseL16coo2dense_kernelILj512EldEEvT0_S1_ll21rocsparse_index_base_PKT1_PKS1_S7_PS3_16rocsparse_order_,@function
_ZN9rocsparseL16coo2dense_kernelILj512EldEEvT0_S1_ll21rocsparse_index_base_PKT1_PKS1_S7_PS3_16rocsparse_order_: ; @_ZN9rocsparseL16coo2dense_kernelILj512EldEEvT0_S1_ll21rocsparse_index_base_PKT1_PKS1_S7_PS3_16rocsparse_order_
; %bb.0:
	s_load_b128 s[4:7], s[0:1], 0x10
	s_bfe_u32 s2, ttmp6, 0x4000c
	s_and_b32 s3, ttmp6, 15
	s_add_co_i32 s2, s2, 1
	s_getreg_b32 s8, hwreg(HW_REG_IB_STS2, 6, 4)
	s_mul_i32 s2, ttmp9, s2
	v_mov_b32_e32 v1, 0
	s_add_co_i32 s3, s3, s2
	s_cmp_eq_u32 s8, 0
	s_cselect_b32 s2, ttmp9, s3
	s_mov_b32 s3, 0
	v_lshl_or_b32 v0, s2, 9, v0
	s_mov_b32 s2, exec_lo
	s_wait_kmcnt 0x0
	s_delay_alu instid0(VALU_DEP_1)
	v_cmpx_gt_i64_e64 s[4:5], v[0:1]
	s_cbranch_execz .LBB9_2
; %bb.1:
	s_load_b256 s[8:15], s[0:1], 0x28
	v_lshlrev_b64_e32 v[0:1], 3, v[0:1]
	s_wait_kmcnt 0x0
	s_delay_alu instid0(VALU_DEP_1)
	v_add_nc_u64_e32 v[2:3], s[10:11], v[0:1]
	v_add_nc_u64_e32 v[4:5], s[12:13], v[0:1]
	;; [unrolled: 1-line block ×3, first 2 shown]
	global_load_b64 v[6:7], v[2:3], off
	global_load_b64 v[8:9], v[4:5], off
	;; [unrolled: 1-line block ×3, first 2 shown]
	s_clause 0x1
	s_load_b32 s2, s[0:1], 0x20
	s_load_b32 s4, s[0:1], 0x48
	s_wait_kmcnt 0x0
	s_cmp_eq_u32 s4, 1
	s_cselect_b32 vcc_lo, -1, 0
	s_wait_loadcnt 0x2
	v_sub_nc_u64_e64 v[2:3], v[6:7], s[2:3]
	s_wait_loadcnt 0x1
	v_sub_nc_u64_e64 v[4:5], v[8:9], s[2:3]
	s_delay_alu instid0(VALU_DEP_1) | instskip(SKIP_1) | instid1(VALU_DEP_2)
	v_dual_cndmask_b32 v7, v3, v5 :: v_dual_cndmask_b32 v6, v2, v4
	v_dual_cndmask_b32 v3, v5, v3 :: v_dual_cndmask_b32 v2, v4, v2
	v_mul_u64_e32 v[6:7], s[6:7], v[6:7]
	s_delay_alu instid0(VALU_DEP_1) | instskip(NEXT) | instid1(VALU_DEP_1)
	v_lshl_add_u64 v[4:5], v[6:7], 3, s[14:15]
	v_lshl_add_u64 v[2:3], v[2:3], 3, v[4:5]
	s_wait_loadcnt 0x0
	global_store_b64 v[2:3], v[0:1], off
.LBB9_2:
	s_endpgm
	.section	.rodata,"a",@progbits
	.p2align	6, 0x0
	.amdhsa_kernel _ZN9rocsparseL16coo2dense_kernelILj512EldEEvT0_S1_ll21rocsparse_index_base_PKT1_PKS1_S7_PS3_16rocsparse_order_
		.amdhsa_group_segment_fixed_size 0
		.amdhsa_private_segment_fixed_size 0
		.amdhsa_kernarg_size 76
		.amdhsa_user_sgpr_count 2
		.amdhsa_user_sgpr_dispatch_ptr 0
		.amdhsa_user_sgpr_queue_ptr 0
		.amdhsa_user_sgpr_kernarg_segment_ptr 1
		.amdhsa_user_sgpr_dispatch_id 0
		.amdhsa_user_sgpr_kernarg_preload_length 0
		.amdhsa_user_sgpr_kernarg_preload_offset 0
		.amdhsa_user_sgpr_private_segment_size 0
		.amdhsa_wavefront_size32 1
		.amdhsa_uses_dynamic_stack 0
		.amdhsa_enable_private_segment 0
		.amdhsa_system_sgpr_workgroup_id_x 1
		.amdhsa_system_sgpr_workgroup_id_y 0
		.amdhsa_system_sgpr_workgroup_id_z 0
		.amdhsa_system_sgpr_workgroup_info 0
		.amdhsa_system_vgpr_workitem_id 0
		.amdhsa_next_free_vgpr 10
		.amdhsa_next_free_sgpr 16
		.amdhsa_named_barrier_count 0
		.amdhsa_reserve_vcc 1
		.amdhsa_float_round_mode_32 0
		.amdhsa_float_round_mode_16_64 0
		.amdhsa_float_denorm_mode_32 3
		.amdhsa_float_denorm_mode_16_64 3
		.amdhsa_fp16_overflow 0
		.amdhsa_memory_ordered 1
		.amdhsa_forward_progress 1
		.amdhsa_inst_pref_size 3
		.amdhsa_round_robin_scheduling 0
		.amdhsa_exception_fp_ieee_invalid_op 0
		.amdhsa_exception_fp_denorm_src 0
		.amdhsa_exception_fp_ieee_div_zero 0
		.amdhsa_exception_fp_ieee_overflow 0
		.amdhsa_exception_fp_ieee_underflow 0
		.amdhsa_exception_fp_ieee_inexact 0
		.amdhsa_exception_int_div_zero 0
	.end_amdhsa_kernel
	.section	.text._ZN9rocsparseL16coo2dense_kernelILj512EldEEvT0_S1_ll21rocsparse_index_base_PKT1_PKS1_S7_PS3_16rocsparse_order_,"axG",@progbits,_ZN9rocsparseL16coo2dense_kernelILj512EldEEvT0_S1_ll21rocsparse_index_base_PKT1_PKS1_S7_PS3_16rocsparse_order_,comdat
.Lfunc_end9:
	.size	_ZN9rocsparseL16coo2dense_kernelILj512EldEEvT0_S1_ll21rocsparse_index_base_PKT1_PKS1_S7_PS3_16rocsparse_order_, .Lfunc_end9-_ZN9rocsparseL16coo2dense_kernelILj512EldEEvT0_S1_ll21rocsparse_index_base_PKT1_PKS1_S7_PS3_16rocsparse_order_
                                        ; -- End function
	.set _ZN9rocsparseL16coo2dense_kernelILj512EldEEvT0_S1_ll21rocsparse_index_base_PKT1_PKS1_S7_PS3_16rocsparse_order_.num_vgpr, 10
	.set _ZN9rocsparseL16coo2dense_kernelILj512EldEEvT0_S1_ll21rocsparse_index_base_PKT1_PKS1_S7_PS3_16rocsparse_order_.num_agpr, 0
	.set _ZN9rocsparseL16coo2dense_kernelILj512EldEEvT0_S1_ll21rocsparse_index_base_PKT1_PKS1_S7_PS3_16rocsparse_order_.numbered_sgpr, 16
	.set _ZN9rocsparseL16coo2dense_kernelILj512EldEEvT0_S1_ll21rocsparse_index_base_PKT1_PKS1_S7_PS3_16rocsparse_order_.num_named_barrier, 0
	.set _ZN9rocsparseL16coo2dense_kernelILj512EldEEvT0_S1_ll21rocsparse_index_base_PKT1_PKS1_S7_PS3_16rocsparse_order_.private_seg_size, 0
	.set _ZN9rocsparseL16coo2dense_kernelILj512EldEEvT0_S1_ll21rocsparse_index_base_PKT1_PKS1_S7_PS3_16rocsparse_order_.uses_vcc, 1
	.set _ZN9rocsparseL16coo2dense_kernelILj512EldEEvT0_S1_ll21rocsparse_index_base_PKT1_PKS1_S7_PS3_16rocsparse_order_.uses_flat_scratch, 0
	.set _ZN9rocsparseL16coo2dense_kernelILj512EldEEvT0_S1_ll21rocsparse_index_base_PKT1_PKS1_S7_PS3_16rocsparse_order_.has_dyn_sized_stack, 0
	.set _ZN9rocsparseL16coo2dense_kernelILj512EldEEvT0_S1_ll21rocsparse_index_base_PKT1_PKS1_S7_PS3_16rocsparse_order_.has_recursion, 0
	.set _ZN9rocsparseL16coo2dense_kernelILj512EldEEvT0_S1_ll21rocsparse_index_base_PKT1_PKS1_S7_PS3_16rocsparse_order_.has_indirect_call, 0
	.section	.AMDGPU.csdata,"",@progbits
; Kernel info:
; codeLenInByte = 272
; TotalNumSgprs: 18
; NumVgprs: 10
; ScratchSize: 0
; MemoryBound: 0
; FloatMode: 240
; IeeeMode: 1
; LDSByteSize: 0 bytes/workgroup (compile time only)
; SGPRBlocks: 0
; VGPRBlocks: 0
; NumSGPRsForWavesPerEU: 18
; NumVGPRsForWavesPerEU: 10
; NamedBarCnt: 0
; Occupancy: 16
; WaveLimiterHint : 1
; COMPUTE_PGM_RSRC2:SCRATCH_EN: 0
; COMPUTE_PGM_RSRC2:USER_SGPR: 2
; COMPUTE_PGM_RSRC2:TRAP_HANDLER: 0
; COMPUTE_PGM_RSRC2:TGID_X_EN: 1
; COMPUTE_PGM_RSRC2:TGID_Y_EN: 0
; COMPUTE_PGM_RSRC2:TGID_Z_EN: 0
; COMPUTE_PGM_RSRC2:TIDIG_COMP_CNT: 0
	.section	.text._ZN9rocsparseL16coo2dense_kernelILj512El21rocsparse_complex_numIfEEEvT0_S3_ll21rocsparse_index_base_PKT1_PKS3_S9_PS5_16rocsparse_order_,"axG",@progbits,_ZN9rocsparseL16coo2dense_kernelILj512El21rocsparse_complex_numIfEEEvT0_S3_ll21rocsparse_index_base_PKT1_PKS3_S9_PS5_16rocsparse_order_,comdat
	.globl	_ZN9rocsparseL16coo2dense_kernelILj512El21rocsparse_complex_numIfEEEvT0_S3_ll21rocsparse_index_base_PKT1_PKS3_S9_PS5_16rocsparse_order_ ; -- Begin function _ZN9rocsparseL16coo2dense_kernelILj512El21rocsparse_complex_numIfEEEvT0_S3_ll21rocsparse_index_base_PKT1_PKS3_S9_PS5_16rocsparse_order_
	.p2align	8
	.type	_ZN9rocsparseL16coo2dense_kernelILj512El21rocsparse_complex_numIfEEEvT0_S3_ll21rocsparse_index_base_PKT1_PKS3_S9_PS5_16rocsparse_order_,@function
_ZN9rocsparseL16coo2dense_kernelILj512El21rocsparse_complex_numIfEEEvT0_S3_ll21rocsparse_index_base_PKT1_PKS3_S9_PS5_16rocsparse_order_: ; @_ZN9rocsparseL16coo2dense_kernelILj512El21rocsparse_complex_numIfEEEvT0_S3_ll21rocsparse_index_base_PKT1_PKS3_S9_PS5_16rocsparse_order_
; %bb.0:
	s_load_b128 s[4:7], s[0:1], 0x10
	s_bfe_u32 s2, ttmp6, 0x4000c
	s_and_b32 s3, ttmp6, 15
	s_add_co_i32 s2, s2, 1
	s_getreg_b32 s8, hwreg(HW_REG_IB_STS2, 6, 4)
	s_mul_i32 s2, ttmp9, s2
	v_mov_b32_e32 v1, 0
	s_add_co_i32 s3, s3, s2
	s_cmp_eq_u32 s8, 0
	s_cselect_b32 s2, ttmp9, s3
	s_mov_b32 s3, 0
	v_lshl_or_b32 v0, s2, 9, v0
	s_mov_b32 s2, exec_lo
	s_wait_kmcnt 0x0
	s_delay_alu instid0(VALU_DEP_1)
	v_cmpx_gt_i64_e64 s[4:5], v[0:1]
	s_cbranch_execz .LBB10_2
; %bb.1:
	s_load_b256 s[8:15], s[0:1], 0x28
	v_lshlrev_b64_e32 v[0:1], 3, v[0:1]
	s_wait_kmcnt 0x0
	s_delay_alu instid0(VALU_DEP_1)
	v_add_nc_u64_e32 v[2:3], s[10:11], v[0:1]
	v_add_nc_u64_e32 v[4:5], s[12:13], v[0:1]
	;; [unrolled: 1-line block ×3, first 2 shown]
	global_load_b64 v[6:7], v[2:3], off
	global_load_b64 v[8:9], v[4:5], off
	;; [unrolled: 1-line block ×3, first 2 shown]
	s_clause 0x1
	s_load_b32 s2, s[0:1], 0x20
	s_load_b32 s4, s[0:1], 0x48
	s_wait_kmcnt 0x0
	s_cmp_eq_u32 s4, 1
	s_cselect_b32 vcc_lo, -1, 0
	s_wait_loadcnt 0x2
	v_sub_nc_u64_e64 v[2:3], v[6:7], s[2:3]
	s_wait_loadcnt 0x1
	v_sub_nc_u64_e64 v[4:5], v[8:9], s[2:3]
	s_delay_alu instid0(VALU_DEP_1) | instskip(SKIP_1) | instid1(VALU_DEP_2)
	v_dual_cndmask_b32 v7, v3, v5 :: v_dual_cndmask_b32 v6, v2, v4
	v_dual_cndmask_b32 v3, v5, v3 :: v_dual_cndmask_b32 v2, v4, v2
	v_mul_u64_e32 v[6:7], s[6:7], v[6:7]
	s_delay_alu instid0(VALU_DEP_1) | instskip(NEXT) | instid1(VALU_DEP_1)
	v_lshl_add_u64 v[4:5], v[6:7], 3, s[14:15]
	v_lshl_add_u64 v[2:3], v[2:3], 3, v[4:5]
	s_wait_loadcnt 0x0
	global_store_b64 v[2:3], v[0:1], off
.LBB10_2:
	s_endpgm
	.section	.rodata,"a",@progbits
	.p2align	6, 0x0
	.amdhsa_kernel _ZN9rocsparseL16coo2dense_kernelILj512El21rocsparse_complex_numIfEEEvT0_S3_ll21rocsparse_index_base_PKT1_PKS3_S9_PS5_16rocsparse_order_
		.amdhsa_group_segment_fixed_size 0
		.amdhsa_private_segment_fixed_size 0
		.amdhsa_kernarg_size 76
		.amdhsa_user_sgpr_count 2
		.amdhsa_user_sgpr_dispatch_ptr 0
		.amdhsa_user_sgpr_queue_ptr 0
		.amdhsa_user_sgpr_kernarg_segment_ptr 1
		.amdhsa_user_sgpr_dispatch_id 0
		.amdhsa_user_sgpr_kernarg_preload_length 0
		.amdhsa_user_sgpr_kernarg_preload_offset 0
		.amdhsa_user_sgpr_private_segment_size 0
		.amdhsa_wavefront_size32 1
		.amdhsa_uses_dynamic_stack 0
		.amdhsa_enable_private_segment 0
		.amdhsa_system_sgpr_workgroup_id_x 1
		.amdhsa_system_sgpr_workgroup_id_y 0
		.amdhsa_system_sgpr_workgroup_id_z 0
		.amdhsa_system_sgpr_workgroup_info 0
		.amdhsa_system_vgpr_workitem_id 0
		.amdhsa_next_free_vgpr 10
		.amdhsa_next_free_sgpr 16
		.amdhsa_named_barrier_count 0
		.amdhsa_reserve_vcc 1
		.amdhsa_float_round_mode_32 0
		.amdhsa_float_round_mode_16_64 0
		.amdhsa_float_denorm_mode_32 3
		.amdhsa_float_denorm_mode_16_64 3
		.amdhsa_fp16_overflow 0
		.amdhsa_memory_ordered 1
		.amdhsa_forward_progress 1
		.amdhsa_inst_pref_size 3
		.amdhsa_round_robin_scheduling 0
		.amdhsa_exception_fp_ieee_invalid_op 0
		.amdhsa_exception_fp_denorm_src 0
		.amdhsa_exception_fp_ieee_div_zero 0
		.amdhsa_exception_fp_ieee_overflow 0
		.amdhsa_exception_fp_ieee_underflow 0
		.amdhsa_exception_fp_ieee_inexact 0
		.amdhsa_exception_int_div_zero 0
	.end_amdhsa_kernel
	.section	.text._ZN9rocsparseL16coo2dense_kernelILj512El21rocsparse_complex_numIfEEEvT0_S3_ll21rocsparse_index_base_PKT1_PKS3_S9_PS5_16rocsparse_order_,"axG",@progbits,_ZN9rocsparseL16coo2dense_kernelILj512El21rocsparse_complex_numIfEEEvT0_S3_ll21rocsparse_index_base_PKT1_PKS3_S9_PS5_16rocsparse_order_,comdat
.Lfunc_end10:
	.size	_ZN9rocsparseL16coo2dense_kernelILj512El21rocsparse_complex_numIfEEEvT0_S3_ll21rocsparse_index_base_PKT1_PKS3_S9_PS5_16rocsparse_order_, .Lfunc_end10-_ZN9rocsparseL16coo2dense_kernelILj512El21rocsparse_complex_numIfEEEvT0_S3_ll21rocsparse_index_base_PKT1_PKS3_S9_PS5_16rocsparse_order_
                                        ; -- End function
	.set _ZN9rocsparseL16coo2dense_kernelILj512El21rocsparse_complex_numIfEEEvT0_S3_ll21rocsparse_index_base_PKT1_PKS3_S9_PS5_16rocsparse_order_.num_vgpr, 10
	.set _ZN9rocsparseL16coo2dense_kernelILj512El21rocsparse_complex_numIfEEEvT0_S3_ll21rocsparse_index_base_PKT1_PKS3_S9_PS5_16rocsparse_order_.num_agpr, 0
	.set _ZN9rocsparseL16coo2dense_kernelILj512El21rocsparse_complex_numIfEEEvT0_S3_ll21rocsparse_index_base_PKT1_PKS3_S9_PS5_16rocsparse_order_.numbered_sgpr, 16
	.set _ZN9rocsparseL16coo2dense_kernelILj512El21rocsparse_complex_numIfEEEvT0_S3_ll21rocsparse_index_base_PKT1_PKS3_S9_PS5_16rocsparse_order_.num_named_barrier, 0
	.set _ZN9rocsparseL16coo2dense_kernelILj512El21rocsparse_complex_numIfEEEvT0_S3_ll21rocsparse_index_base_PKT1_PKS3_S9_PS5_16rocsparse_order_.private_seg_size, 0
	.set _ZN9rocsparseL16coo2dense_kernelILj512El21rocsparse_complex_numIfEEEvT0_S3_ll21rocsparse_index_base_PKT1_PKS3_S9_PS5_16rocsparse_order_.uses_vcc, 1
	.set _ZN9rocsparseL16coo2dense_kernelILj512El21rocsparse_complex_numIfEEEvT0_S3_ll21rocsparse_index_base_PKT1_PKS3_S9_PS5_16rocsparse_order_.uses_flat_scratch, 0
	.set _ZN9rocsparseL16coo2dense_kernelILj512El21rocsparse_complex_numIfEEEvT0_S3_ll21rocsparse_index_base_PKT1_PKS3_S9_PS5_16rocsparse_order_.has_dyn_sized_stack, 0
	.set _ZN9rocsparseL16coo2dense_kernelILj512El21rocsparse_complex_numIfEEEvT0_S3_ll21rocsparse_index_base_PKT1_PKS3_S9_PS5_16rocsparse_order_.has_recursion, 0
	.set _ZN9rocsparseL16coo2dense_kernelILj512El21rocsparse_complex_numIfEEEvT0_S3_ll21rocsparse_index_base_PKT1_PKS3_S9_PS5_16rocsparse_order_.has_indirect_call, 0
	.section	.AMDGPU.csdata,"",@progbits
; Kernel info:
; codeLenInByte = 272
; TotalNumSgprs: 18
; NumVgprs: 10
; ScratchSize: 0
; MemoryBound: 0
; FloatMode: 240
; IeeeMode: 1
; LDSByteSize: 0 bytes/workgroup (compile time only)
; SGPRBlocks: 0
; VGPRBlocks: 0
; NumSGPRsForWavesPerEU: 18
; NumVGPRsForWavesPerEU: 10
; NamedBarCnt: 0
; Occupancy: 16
; WaveLimiterHint : 1
; COMPUTE_PGM_RSRC2:SCRATCH_EN: 0
; COMPUTE_PGM_RSRC2:USER_SGPR: 2
; COMPUTE_PGM_RSRC2:TRAP_HANDLER: 0
; COMPUTE_PGM_RSRC2:TGID_X_EN: 1
; COMPUTE_PGM_RSRC2:TGID_Y_EN: 0
; COMPUTE_PGM_RSRC2:TGID_Z_EN: 0
; COMPUTE_PGM_RSRC2:TIDIG_COMP_CNT: 0
	.section	.text._ZN9rocsparseL16coo2dense_kernelILj512El21rocsparse_complex_numIdEEEvT0_S3_ll21rocsparse_index_base_PKT1_PKS3_S9_PS5_16rocsparse_order_,"axG",@progbits,_ZN9rocsparseL16coo2dense_kernelILj512El21rocsparse_complex_numIdEEEvT0_S3_ll21rocsparse_index_base_PKT1_PKS3_S9_PS5_16rocsparse_order_,comdat
	.globl	_ZN9rocsparseL16coo2dense_kernelILj512El21rocsparse_complex_numIdEEEvT0_S3_ll21rocsparse_index_base_PKT1_PKS3_S9_PS5_16rocsparse_order_ ; -- Begin function _ZN9rocsparseL16coo2dense_kernelILj512El21rocsparse_complex_numIdEEEvT0_S3_ll21rocsparse_index_base_PKT1_PKS3_S9_PS5_16rocsparse_order_
	.p2align	8
	.type	_ZN9rocsparseL16coo2dense_kernelILj512El21rocsparse_complex_numIdEEEvT0_S3_ll21rocsparse_index_base_PKT1_PKS3_S9_PS5_16rocsparse_order_,@function
_ZN9rocsparseL16coo2dense_kernelILj512El21rocsparse_complex_numIdEEEvT0_S3_ll21rocsparse_index_base_PKT1_PKS3_S9_PS5_16rocsparse_order_: ; @_ZN9rocsparseL16coo2dense_kernelILj512El21rocsparse_complex_numIdEEEvT0_S3_ll21rocsparse_index_base_PKT1_PKS3_S9_PS5_16rocsparse_order_
; %bb.0:
	s_load_b128 s[12:15], s[0:1], 0x10
	s_bfe_u32 s2, ttmp6, 0x4000c
	s_and_b32 s3, ttmp6, 15
	s_add_co_i32 s2, s2, 1
	s_getreg_b32 s4, hwreg(HW_REG_IB_STS2, 6, 4)
	s_mul_i32 s2, ttmp9, s2
	v_mov_b32_e32 v1, 0
	s_add_co_i32 s3, s3, s2
	s_cmp_eq_u32 s4, 0
	s_cselect_b32 s2, ttmp9, s3
	s_mov_b32 s3, 0
	v_lshl_or_b32 v0, s2, 9, v0
	s_mov_b32 s2, exec_lo
	s_wait_kmcnt 0x0
	s_delay_alu instid0(VALU_DEP_1)
	v_cmpx_gt_i64_e64 s[12:13], v[0:1]
	s_cbranch_execz .LBB11_2
; %bb.1:
	s_load_b256 s[4:11], s[0:1], 0x28
	v_lshlrev_b64_e32 v[2:3], 3, v[0:1]
	s_wait_kmcnt 0x0
	s_delay_alu instid0(VALU_DEP_1)
	v_add_nc_u64_e32 v[4:5], s[6:7], v[2:3]
	v_add_nc_u64_e32 v[2:3], s[8:9], v[2:3]
	v_lshl_add_u64 v[0:1], v[0:1], 4, s[4:5]
	global_load_b64 v[6:7], v[4:5], off
	global_load_b64 v[8:9], v[2:3], off
	global_load_b128 v[0:3], v[0:1], off
	s_clause 0x1
	s_load_b32 s2, s[0:1], 0x20
	s_load_b32 s4, s[0:1], 0x48
	s_wait_kmcnt 0x0
	s_cmp_eq_u32 s4, 1
	s_cselect_b32 vcc_lo, -1, 0
	s_wait_loadcnt 0x2
	v_sub_nc_u64_e64 v[4:5], v[6:7], s[2:3]
	s_wait_loadcnt 0x1
	v_sub_nc_u64_e64 v[6:7], v[8:9], s[2:3]
	s_delay_alu instid0(VALU_DEP_1) | instskip(SKIP_1) | instid1(VALU_DEP_2)
	v_dual_cndmask_b32 v9, v5, v7 :: v_dual_cndmask_b32 v8, v4, v6
	v_dual_cndmask_b32 v5, v7, v5 :: v_dual_cndmask_b32 v4, v6, v4
	v_mul_u64_e32 v[8:9], s[14:15], v[8:9]
	s_delay_alu instid0(VALU_DEP_1) | instskip(NEXT) | instid1(VALU_DEP_1)
	v_lshl_add_u64 v[6:7], v[8:9], 4, s[10:11]
	v_lshl_add_u64 v[4:5], v[4:5], 4, v[6:7]
	s_wait_loadcnt 0x0
	global_store_b128 v[4:5], v[0:3], off
.LBB11_2:
	s_endpgm
	.section	.rodata,"a",@progbits
	.p2align	6, 0x0
	.amdhsa_kernel _ZN9rocsparseL16coo2dense_kernelILj512El21rocsparse_complex_numIdEEEvT0_S3_ll21rocsparse_index_base_PKT1_PKS3_S9_PS5_16rocsparse_order_
		.amdhsa_group_segment_fixed_size 0
		.amdhsa_private_segment_fixed_size 0
		.amdhsa_kernarg_size 76
		.amdhsa_user_sgpr_count 2
		.amdhsa_user_sgpr_dispatch_ptr 0
		.amdhsa_user_sgpr_queue_ptr 0
		.amdhsa_user_sgpr_kernarg_segment_ptr 1
		.amdhsa_user_sgpr_dispatch_id 0
		.amdhsa_user_sgpr_kernarg_preload_length 0
		.amdhsa_user_sgpr_kernarg_preload_offset 0
		.amdhsa_user_sgpr_private_segment_size 0
		.amdhsa_wavefront_size32 1
		.amdhsa_uses_dynamic_stack 0
		.amdhsa_enable_private_segment 0
		.amdhsa_system_sgpr_workgroup_id_x 1
		.amdhsa_system_sgpr_workgroup_id_y 0
		.amdhsa_system_sgpr_workgroup_id_z 0
		.amdhsa_system_sgpr_workgroup_info 0
		.amdhsa_system_vgpr_workitem_id 0
		.amdhsa_next_free_vgpr 10
		.amdhsa_next_free_sgpr 16
		.amdhsa_named_barrier_count 0
		.amdhsa_reserve_vcc 1
		.amdhsa_float_round_mode_32 0
		.amdhsa_float_round_mode_16_64 0
		.amdhsa_float_denorm_mode_32 3
		.amdhsa_float_denorm_mode_16_64 3
		.amdhsa_fp16_overflow 0
		.amdhsa_memory_ordered 1
		.amdhsa_forward_progress 1
		.amdhsa_inst_pref_size 3
		.amdhsa_round_robin_scheduling 0
		.amdhsa_exception_fp_ieee_invalid_op 0
		.amdhsa_exception_fp_denorm_src 0
		.amdhsa_exception_fp_ieee_div_zero 0
		.amdhsa_exception_fp_ieee_overflow 0
		.amdhsa_exception_fp_ieee_underflow 0
		.amdhsa_exception_fp_ieee_inexact 0
		.amdhsa_exception_int_div_zero 0
	.end_amdhsa_kernel
	.section	.text._ZN9rocsparseL16coo2dense_kernelILj512El21rocsparse_complex_numIdEEEvT0_S3_ll21rocsparse_index_base_PKT1_PKS3_S9_PS5_16rocsparse_order_,"axG",@progbits,_ZN9rocsparseL16coo2dense_kernelILj512El21rocsparse_complex_numIdEEEvT0_S3_ll21rocsparse_index_base_PKT1_PKS3_S9_PS5_16rocsparse_order_,comdat
.Lfunc_end11:
	.size	_ZN9rocsparseL16coo2dense_kernelILj512El21rocsparse_complex_numIdEEEvT0_S3_ll21rocsparse_index_base_PKT1_PKS3_S9_PS5_16rocsparse_order_, .Lfunc_end11-_ZN9rocsparseL16coo2dense_kernelILj512El21rocsparse_complex_numIdEEEvT0_S3_ll21rocsparse_index_base_PKT1_PKS3_S9_PS5_16rocsparse_order_
                                        ; -- End function
	.set _ZN9rocsparseL16coo2dense_kernelILj512El21rocsparse_complex_numIdEEEvT0_S3_ll21rocsparse_index_base_PKT1_PKS3_S9_PS5_16rocsparse_order_.num_vgpr, 10
	.set _ZN9rocsparseL16coo2dense_kernelILj512El21rocsparse_complex_numIdEEEvT0_S3_ll21rocsparse_index_base_PKT1_PKS3_S9_PS5_16rocsparse_order_.num_agpr, 0
	.set _ZN9rocsparseL16coo2dense_kernelILj512El21rocsparse_complex_numIdEEEvT0_S3_ll21rocsparse_index_base_PKT1_PKS3_S9_PS5_16rocsparse_order_.numbered_sgpr, 16
	.set _ZN9rocsparseL16coo2dense_kernelILj512El21rocsparse_complex_numIdEEEvT0_S3_ll21rocsparse_index_base_PKT1_PKS3_S9_PS5_16rocsparse_order_.num_named_barrier, 0
	.set _ZN9rocsparseL16coo2dense_kernelILj512El21rocsparse_complex_numIdEEEvT0_S3_ll21rocsparse_index_base_PKT1_PKS3_S9_PS5_16rocsparse_order_.private_seg_size, 0
	.set _ZN9rocsparseL16coo2dense_kernelILj512El21rocsparse_complex_numIdEEEvT0_S3_ll21rocsparse_index_base_PKT1_PKS3_S9_PS5_16rocsparse_order_.uses_vcc, 1
	.set _ZN9rocsparseL16coo2dense_kernelILj512El21rocsparse_complex_numIdEEEvT0_S3_ll21rocsparse_index_base_PKT1_PKS3_S9_PS5_16rocsparse_order_.uses_flat_scratch, 0
	.set _ZN9rocsparseL16coo2dense_kernelILj512El21rocsparse_complex_numIdEEEvT0_S3_ll21rocsparse_index_base_PKT1_PKS3_S9_PS5_16rocsparse_order_.has_dyn_sized_stack, 0
	.set _ZN9rocsparseL16coo2dense_kernelILj512El21rocsparse_complex_numIdEEEvT0_S3_ll21rocsparse_index_base_PKT1_PKS3_S9_PS5_16rocsparse_order_.has_recursion, 0
	.set _ZN9rocsparseL16coo2dense_kernelILj512El21rocsparse_complex_numIdEEEvT0_S3_ll21rocsparse_index_base_PKT1_PKS3_S9_PS5_16rocsparse_order_.has_indirect_call, 0
	.section	.AMDGPU.csdata,"",@progbits
; Kernel info:
; codeLenInByte = 276
; TotalNumSgprs: 18
; NumVgprs: 10
; ScratchSize: 0
; MemoryBound: 0
; FloatMode: 240
; IeeeMode: 1
; LDSByteSize: 0 bytes/workgroup (compile time only)
; SGPRBlocks: 0
; VGPRBlocks: 0
; NumSGPRsForWavesPerEU: 18
; NumVGPRsForWavesPerEU: 10
; NamedBarCnt: 0
; Occupancy: 16
; WaveLimiterHint : 1
; COMPUTE_PGM_RSRC2:SCRATCH_EN: 0
; COMPUTE_PGM_RSRC2:USER_SGPR: 2
; COMPUTE_PGM_RSRC2:TRAP_HANDLER: 0
; COMPUTE_PGM_RSRC2:TGID_X_EN: 1
; COMPUTE_PGM_RSRC2:TGID_Y_EN: 0
; COMPUTE_PGM_RSRC2:TGID_Z_EN: 0
; COMPUTE_PGM_RSRC2:TIDIG_COMP_CNT: 0
	.section	.AMDGPU.gpr_maximums,"",@progbits
	.set amdgpu.max_num_vgpr, 0
	.set amdgpu.max_num_agpr, 0
	.set amdgpu.max_num_sgpr, 0
	.section	.AMDGPU.csdata,"",@progbits
	.type	__hip_cuid_61d951a076749472,@object ; @__hip_cuid_61d951a076749472
	.section	.bss,"aw",@nobits
	.globl	__hip_cuid_61d951a076749472
__hip_cuid_61d951a076749472:
	.byte	0                               ; 0x0
	.size	__hip_cuid_61d951a076749472, 1

	.ident	"AMD clang version 22.0.0git (https://github.com/RadeonOpenCompute/llvm-project roc-7.2.4 26084 f58b06dce1f9c15707c5f808fd002e18c2accf7e)"
	.section	".note.GNU-stack","",@progbits
	.addrsig
	.addrsig_sym __hip_cuid_61d951a076749472
	.amdgpu_metadata
---
amdhsa.kernels:
  - .args:
      - .offset:         0
        .size:           4
        .value_kind:     by_value
      - .offset:         4
        .size:           4
        .value_kind:     by_value
      - .offset:         8
        .size:           8
        .value_kind:     by_value
      - .offset:         16
        .size:           8
        .value_kind:     by_value
      - .offset:         24
        .size:           4
        .value_kind:     by_value
      - .address_space:  global
        .offset:         32
        .size:           8
        .value_kind:     global_buffer
      - .address_space:  global
        .offset:         40
        .size:           8
        .value_kind:     global_buffer
      - .address_space:  global
        .offset:         48
        .size:           8
        .value_kind:     global_buffer
      - .address_space:  global
        .offset:         56
        .size:           8
        .value_kind:     global_buffer
      - .offset:         64
        .size:           4
        .value_kind:     by_value
    .group_segment_fixed_size: 0
    .kernarg_segment_align: 8
    .kernarg_segment_size: 68
    .language:       OpenCL C
    .language_version:
      - 2
      - 0
    .max_flat_workgroup_size: 512
    .name:           _ZN9rocsparseL16coo2dense_kernelILj512EiDF16_EEvT0_S1_ll21rocsparse_index_base_PKT1_PKS1_S7_PS3_16rocsparse_order_
    .private_segment_fixed_size: 0
    .sgpr_count:     18
    .sgpr_spill_count: 0
    .symbol:         _ZN9rocsparseL16coo2dense_kernelILj512EiDF16_EEvT0_S1_ll21rocsparse_index_base_PKT1_PKS1_S7_PS3_16rocsparse_order_.kd
    .uniform_work_group_size: 1
    .uses_dynamic_stack: false
    .vgpr_count:     8
    .vgpr_spill_count: 0
    .wavefront_size: 32
  - .args:
      - .offset:         0
        .size:           4
        .value_kind:     by_value
      - .offset:         4
        .size:           4
        .value_kind:     by_value
      - .offset:         8
        .size:           8
        .value_kind:     by_value
      - .offset:         16
        .size:           8
        .value_kind:     by_value
      - .offset:         24
        .size:           4
        .value_kind:     by_value
      - .address_space:  global
        .offset:         32
        .size:           8
        .value_kind:     global_buffer
      - .address_space:  global
        .offset:         40
        .size:           8
        .value_kind:     global_buffer
      - .address_space:  global
        .offset:         48
        .size:           8
        .value_kind:     global_buffer
      - .address_space:  global
        .offset:         56
        .size:           8
        .value_kind:     global_buffer
      - .offset:         64
        .size:           4
        .value_kind:     by_value
    .group_segment_fixed_size: 0
    .kernarg_segment_align: 8
    .kernarg_segment_size: 68
    .language:       OpenCL C
    .language_version:
      - 2
      - 0
    .max_flat_workgroup_size: 512
    .name:           _ZN9rocsparseL16coo2dense_kernelILj512Ei18rocsparse_bfloat16EEvT0_S2_ll21rocsparse_index_base_PKT1_PKS2_S8_PS4_16rocsparse_order_
    .private_segment_fixed_size: 0
    .sgpr_count:     18
    .sgpr_spill_count: 0
    .symbol:         _ZN9rocsparseL16coo2dense_kernelILj512Ei18rocsparse_bfloat16EEvT0_S2_ll21rocsparse_index_base_PKT1_PKS2_S8_PS4_16rocsparse_order_.kd
    .uniform_work_group_size: 1
    .uses_dynamic_stack: false
    .vgpr_count:     8
    .vgpr_spill_count: 0
    .wavefront_size: 32
  - .args:
      - .offset:         0
        .size:           4
        .value_kind:     by_value
      - .offset:         4
        .size:           4
        .value_kind:     by_value
      - .offset:         8
        .size:           8
        .value_kind:     by_value
      - .offset:         16
        .size:           8
        .value_kind:     by_value
      - .offset:         24
        .size:           4
        .value_kind:     by_value
      - .address_space:  global
        .offset:         32
        .size:           8
        .value_kind:     global_buffer
      - .address_space:  global
        .offset:         40
        .size:           8
        .value_kind:     global_buffer
      - .address_space:  global
        .offset:         48
        .size:           8
        .value_kind:     global_buffer
      - .address_space:  global
        .offset:         56
        .size:           8
        .value_kind:     global_buffer
      - .offset:         64
        .size:           4
        .value_kind:     by_value
    .group_segment_fixed_size: 0
    .kernarg_segment_align: 8
    .kernarg_segment_size: 68
    .language:       OpenCL C
    .language_version:
      - 2
      - 0
    .max_flat_workgroup_size: 512
    .name:           _ZN9rocsparseL16coo2dense_kernelILj512EifEEvT0_S1_ll21rocsparse_index_base_PKT1_PKS1_S7_PS3_16rocsparse_order_
    .private_segment_fixed_size: 0
    .sgpr_count:     18
    .sgpr_spill_count: 0
    .symbol:         _ZN9rocsparseL16coo2dense_kernelILj512EifEEvT0_S1_ll21rocsparse_index_base_PKT1_PKS1_S7_PS3_16rocsparse_order_.kd
    .uniform_work_group_size: 1
    .uses_dynamic_stack: false
    .vgpr_count:     8
    .vgpr_spill_count: 0
    .wavefront_size: 32
  - .args:
      - .offset:         0
        .size:           4
        .value_kind:     by_value
      - .offset:         4
        .size:           4
        .value_kind:     by_value
      - .offset:         8
        .size:           8
        .value_kind:     by_value
      - .offset:         16
        .size:           8
        .value_kind:     by_value
      - .offset:         24
        .size:           4
        .value_kind:     by_value
      - .address_space:  global
        .offset:         32
        .size:           8
        .value_kind:     global_buffer
      - .address_space:  global
        .offset:         40
        .size:           8
        .value_kind:     global_buffer
      - .address_space:  global
        .offset:         48
        .size:           8
        .value_kind:     global_buffer
      - .address_space:  global
        .offset:         56
        .size:           8
        .value_kind:     global_buffer
      - .offset:         64
        .size:           4
        .value_kind:     by_value
    .group_segment_fixed_size: 0
    .kernarg_segment_align: 8
    .kernarg_segment_size: 68
    .language:       OpenCL C
    .language_version:
      - 2
      - 0
    .max_flat_workgroup_size: 512
    .name:           _ZN9rocsparseL16coo2dense_kernelILj512EidEEvT0_S1_ll21rocsparse_index_base_PKT1_PKS1_S7_PS3_16rocsparse_order_
    .private_segment_fixed_size: 0
    .sgpr_count:     18
    .sgpr_spill_count: 0
    .symbol:         _ZN9rocsparseL16coo2dense_kernelILj512EidEEvT0_S1_ll21rocsparse_index_base_PKT1_PKS1_S7_PS3_16rocsparse_order_.kd
    .uniform_work_group_size: 1
    .uses_dynamic_stack: false
    .vgpr_count:     8
    .vgpr_spill_count: 0
    .wavefront_size: 32
  - .args:
      - .offset:         0
        .size:           4
        .value_kind:     by_value
      - .offset:         4
        .size:           4
        .value_kind:     by_value
      - .offset:         8
        .size:           8
        .value_kind:     by_value
      - .offset:         16
        .size:           8
        .value_kind:     by_value
      - .offset:         24
        .size:           4
        .value_kind:     by_value
      - .address_space:  global
        .offset:         32
        .size:           8
        .value_kind:     global_buffer
      - .address_space:  global
        .offset:         40
        .size:           8
        .value_kind:     global_buffer
      - .address_space:  global
        .offset:         48
        .size:           8
        .value_kind:     global_buffer
      - .address_space:  global
        .offset:         56
        .size:           8
        .value_kind:     global_buffer
      - .offset:         64
        .size:           4
        .value_kind:     by_value
    .group_segment_fixed_size: 0
    .kernarg_segment_align: 8
    .kernarg_segment_size: 68
    .language:       OpenCL C
    .language_version:
      - 2
      - 0
    .max_flat_workgroup_size: 512
    .name:           _ZN9rocsparseL16coo2dense_kernelILj512Ei21rocsparse_complex_numIfEEEvT0_S3_ll21rocsparse_index_base_PKT1_PKS3_S9_PS5_16rocsparse_order_
    .private_segment_fixed_size: 0
    .sgpr_count:     18
    .sgpr_spill_count: 0
    .symbol:         _ZN9rocsparseL16coo2dense_kernelILj512Ei21rocsparse_complex_numIfEEEvT0_S3_ll21rocsparse_index_base_PKT1_PKS3_S9_PS5_16rocsparse_order_.kd
    .uniform_work_group_size: 1
    .uses_dynamic_stack: false
    .vgpr_count:     8
    .vgpr_spill_count: 0
    .wavefront_size: 32
  - .args:
      - .offset:         0
        .size:           4
        .value_kind:     by_value
      - .offset:         4
        .size:           4
        .value_kind:     by_value
      - .offset:         8
        .size:           8
        .value_kind:     by_value
      - .offset:         16
        .size:           8
        .value_kind:     by_value
      - .offset:         24
        .size:           4
        .value_kind:     by_value
      - .address_space:  global
        .offset:         32
        .size:           8
        .value_kind:     global_buffer
      - .address_space:  global
        .offset:         40
        .size:           8
        .value_kind:     global_buffer
      - .address_space:  global
        .offset:         48
        .size:           8
        .value_kind:     global_buffer
      - .address_space:  global
        .offset:         56
        .size:           8
        .value_kind:     global_buffer
      - .offset:         64
        .size:           4
        .value_kind:     by_value
    .group_segment_fixed_size: 0
    .kernarg_segment_align: 8
    .kernarg_segment_size: 68
    .language:       OpenCL C
    .language_version:
      - 2
      - 0
    .max_flat_workgroup_size: 512
    .name:           _ZN9rocsparseL16coo2dense_kernelILj512Ei21rocsparse_complex_numIdEEEvT0_S3_ll21rocsparse_index_base_PKT1_PKS3_S9_PS5_16rocsparse_order_
    .private_segment_fixed_size: 0
    .sgpr_count:     18
    .sgpr_spill_count: 0
    .symbol:         _ZN9rocsparseL16coo2dense_kernelILj512Ei21rocsparse_complex_numIdEEEvT0_S3_ll21rocsparse_index_base_PKT1_PKS3_S9_PS5_16rocsparse_order_.kd
    .uniform_work_group_size: 1
    .uses_dynamic_stack: false
    .vgpr_count:     8
    .vgpr_spill_count: 0
    .wavefront_size: 32
  - .args:
      - .offset:         0
        .size:           8
        .value_kind:     by_value
      - .offset:         8
        .size:           8
        .value_kind:     by_value
      - .offset:         16
        .size:           8
        .value_kind:     by_value
      - .offset:         24
        .size:           8
        .value_kind:     by_value
      - .offset:         32
        .size:           4
        .value_kind:     by_value
      - .address_space:  global
        .offset:         40
        .size:           8
        .value_kind:     global_buffer
      - .address_space:  global
        .offset:         48
        .size:           8
        .value_kind:     global_buffer
      - .address_space:  global
        .offset:         56
        .size:           8
        .value_kind:     global_buffer
      - .address_space:  global
        .offset:         64
        .size:           8
        .value_kind:     global_buffer
      - .offset:         72
        .size:           4
        .value_kind:     by_value
    .group_segment_fixed_size: 0
    .kernarg_segment_align: 8
    .kernarg_segment_size: 76
    .language:       OpenCL C
    .language_version:
      - 2
      - 0
    .max_flat_workgroup_size: 512
    .name:           _ZN9rocsparseL16coo2dense_kernelILj512ElDF16_EEvT0_S1_ll21rocsparse_index_base_PKT1_PKS1_S7_PS3_16rocsparse_order_
    .private_segment_fixed_size: 0
    .sgpr_count:     18
    .sgpr_spill_count: 0
    .symbol:         _ZN9rocsparseL16coo2dense_kernelILj512ElDF16_EEvT0_S1_ll21rocsparse_index_base_PKT1_PKS1_S7_PS3_16rocsparse_order_.kd
    .uniform_work_group_size: 1
    .uses_dynamic_stack: false
    .vgpr_count:     11
    .vgpr_spill_count: 0
    .wavefront_size: 32
  - .args:
      - .offset:         0
        .size:           8
        .value_kind:     by_value
      - .offset:         8
        .size:           8
        .value_kind:     by_value
      - .offset:         16
        .size:           8
        .value_kind:     by_value
      - .offset:         24
        .size:           8
        .value_kind:     by_value
      - .offset:         32
        .size:           4
        .value_kind:     by_value
      - .address_space:  global
        .offset:         40
        .size:           8
        .value_kind:     global_buffer
      - .address_space:  global
        .offset:         48
        .size:           8
        .value_kind:     global_buffer
      - .address_space:  global
        .offset:         56
        .size:           8
        .value_kind:     global_buffer
      - .address_space:  global
        .offset:         64
        .size:           8
        .value_kind:     global_buffer
      - .offset:         72
        .size:           4
        .value_kind:     by_value
    .group_segment_fixed_size: 0
    .kernarg_segment_align: 8
    .kernarg_segment_size: 76
    .language:       OpenCL C
    .language_version:
      - 2
      - 0
    .max_flat_workgroup_size: 512
    .name:           _ZN9rocsparseL16coo2dense_kernelILj512El18rocsparse_bfloat16EEvT0_S2_ll21rocsparse_index_base_PKT1_PKS2_S8_PS4_16rocsparse_order_
    .private_segment_fixed_size: 0
    .sgpr_count:     18
    .sgpr_spill_count: 0
    .symbol:         _ZN9rocsparseL16coo2dense_kernelILj512El18rocsparse_bfloat16EEvT0_S2_ll21rocsparse_index_base_PKT1_PKS2_S8_PS4_16rocsparse_order_.kd
    .uniform_work_group_size: 1
    .uses_dynamic_stack: false
    .vgpr_count:     11
    .vgpr_spill_count: 0
    .wavefront_size: 32
  - .args:
      - .offset:         0
        .size:           8
        .value_kind:     by_value
      - .offset:         8
        .size:           8
        .value_kind:     by_value
      - .offset:         16
        .size:           8
        .value_kind:     by_value
      - .offset:         24
        .size:           8
        .value_kind:     by_value
      - .offset:         32
        .size:           4
        .value_kind:     by_value
      - .address_space:  global
        .offset:         40
        .size:           8
        .value_kind:     global_buffer
      - .address_space:  global
        .offset:         48
        .size:           8
        .value_kind:     global_buffer
      - .address_space:  global
        .offset:         56
        .size:           8
        .value_kind:     global_buffer
      - .address_space:  global
        .offset:         64
        .size:           8
        .value_kind:     global_buffer
      - .offset:         72
        .size:           4
        .value_kind:     by_value
    .group_segment_fixed_size: 0
    .kernarg_segment_align: 8
    .kernarg_segment_size: 76
    .language:       OpenCL C
    .language_version:
      - 2
      - 0
    .max_flat_workgroup_size: 512
    .name:           _ZN9rocsparseL16coo2dense_kernelILj512ElfEEvT0_S1_ll21rocsparse_index_base_PKT1_PKS1_S7_PS3_16rocsparse_order_
    .private_segment_fixed_size: 0
    .sgpr_count:     18
    .sgpr_spill_count: 0
    .symbol:         _ZN9rocsparseL16coo2dense_kernelILj512ElfEEvT0_S1_ll21rocsparse_index_base_PKT1_PKS1_S7_PS3_16rocsparse_order_.kd
    .uniform_work_group_size: 1
    .uses_dynamic_stack: false
    .vgpr_count:     11
    .vgpr_spill_count: 0
    .wavefront_size: 32
  - .args:
      - .offset:         0
        .size:           8
        .value_kind:     by_value
      - .offset:         8
        .size:           8
        .value_kind:     by_value
      - .offset:         16
        .size:           8
        .value_kind:     by_value
      - .offset:         24
        .size:           8
        .value_kind:     by_value
      - .offset:         32
        .size:           4
        .value_kind:     by_value
      - .address_space:  global
        .offset:         40
        .size:           8
        .value_kind:     global_buffer
      - .address_space:  global
        .offset:         48
        .size:           8
        .value_kind:     global_buffer
      - .address_space:  global
        .offset:         56
        .size:           8
        .value_kind:     global_buffer
      - .address_space:  global
        .offset:         64
        .size:           8
        .value_kind:     global_buffer
      - .offset:         72
        .size:           4
        .value_kind:     by_value
    .group_segment_fixed_size: 0
    .kernarg_segment_align: 8
    .kernarg_segment_size: 76
    .language:       OpenCL C
    .language_version:
      - 2
      - 0
    .max_flat_workgroup_size: 512
    .name:           _ZN9rocsparseL16coo2dense_kernelILj512EldEEvT0_S1_ll21rocsparse_index_base_PKT1_PKS1_S7_PS3_16rocsparse_order_
    .private_segment_fixed_size: 0
    .sgpr_count:     18
    .sgpr_spill_count: 0
    .symbol:         _ZN9rocsparseL16coo2dense_kernelILj512EldEEvT0_S1_ll21rocsparse_index_base_PKT1_PKS1_S7_PS3_16rocsparse_order_.kd
    .uniform_work_group_size: 1
    .uses_dynamic_stack: false
    .vgpr_count:     10
    .vgpr_spill_count: 0
    .wavefront_size: 32
  - .args:
      - .offset:         0
        .size:           8
        .value_kind:     by_value
      - .offset:         8
        .size:           8
        .value_kind:     by_value
      - .offset:         16
        .size:           8
        .value_kind:     by_value
      - .offset:         24
        .size:           8
        .value_kind:     by_value
      - .offset:         32
        .size:           4
        .value_kind:     by_value
      - .address_space:  global
        .offset:         40
        .size:           8
        .value_kind:     global_buffer
      - .address_space:  global
        .offset:         48
        .size:           8
        .value_kind:     global_buffer
      - .address_space:  global
        .offset:         56
        .size:           8
        .value_kind:     global_buffer
      - .address_space:  global
        .offset:         64
        .size:           8
        .value_kind:     global_buffer
      - .offset:         72
        .size:           4
        .value_kind:     by_value
    .group_segment_fixed_size: 0
    .kernarg_segment_align: 8
    .kernarg_segment_size: 76
    .language:       OpenCL C
    .language_version:
      - 2
      - 0
    .max_flat_workgroup_size: 512
    .name:           _ZN9rocsparseL16coo2dense_kernelILj512El21rocsparse_complex_numIfEEEvT0_S3_ll21rocsparse_index_base_PKT1_PKS3_S9_PS5_16rocsparse_order_
    .private_segment_fixed_size: 0
    .sgpr_count:     18
    .sgpr_spill_count: 0
    .symbol:         _ZN9rocsparseL16coo2dense_kernelILj512El21rocsparse_complex_numIfEEEvT0_S3_ll21rocsparse_index_base_PKT1_PKS3_S9_PS5_16rocsparse_order_.kd
    .uniform_work_group_size: 1
    .uses_dynamic_stack: false
    .vgpr_count:     10
    .vgpr_spill_count: 0
    .wavefront_size: 32
  - .args:
      - .offset:         0
        .size:           8
        .value_kind:     by_value
      - .offset:         8
        .size:           8
        .value_kind:     by_value
      - .offset:         16
        .size:           8
        .value_kind:     by_value
      - .offset:         24
        .size:           8
        .value_kind:     by_value
      - .offset:         32
        .size:           4
        .value_kind:     by_value
      - .address_space:  global
        .offset:         40
        .size:           8
        .value_kind:     global_buffer
      - .address_space:  global
        .offset:         48
        .size:           8
        .value_kind:     global_buffer
      - .address_space:  global
        .offset:         56
        .size:           8
        .value_kind:     global_buffer
      - .address_space:  global
        .offset:         64
        .size:           8
        .value_kind:     global_buffer
      - .offset:         72
        .size:           4
        .value_kind:     by_value
    .group_segment_fixed_size: 0
    .kernarg_segment_align: 8
    .kernarg_segment_size: 76
    .language:       OpenCL C
    .language_version:
      - 2
      - 0
    .max_flat_workgroup_size: 512
    .name:           _ZN9rocsparseL16coo2dense_kernelILj512El21rocsparse_complex_numIdEEEvT0_S3_ll21rocsparse_index_base_PKT1_PKS3_S9_PS5_16rocsparse_order_
    .private_segment_fixed_size: 0
    .sgpr_count:     18
    .sgpr_spill_count: 0
    .symbol:         _ZN9rocsparseL16coo2dense_kernelILj512El21rocsparse_complex_numIdEEEvT0_S3_ll21rocsparse_index_base_PKT1_PKS3_S9_PS5_16rocsparse_order_.kd
    .uniform_work_group_size: 1
    .uses_dynamic_stack: false
    .vgpr_count:     10
    .vgpr_spill_count: 0
    .wavefront_size: 32
amdhsa.target:   amdgcn-amd-amdhsa--gfx1250
amdhsa.version:
  - 1
  - 2
...

	.end_amdgpu_metadata
